;; amdgpu-corpus repo=ROCm/rocFFT kind=compiled arch=gfx1100 opt=O3
	.text
	.amdgcn_target "amdgcn-amd-amdhsa--gfx1100"
	.amdhsa_code_object_version 6
	.protected	bluestein_single_fwd_len990_dim1_dp_op_CI_CI ; -- Begin function bluestein_single_fwd_len990_dim1_dp_op_CI_CI
	.globl	bluestein_single_fwd_len990_dim1_dp_op_CI_CI
	.p2align	8
	.type	bluestein_single_fwd_len990_dim1_dp_op_CI_CI,@function
bluestein_single_fwd_len990_dim1_dp_op_CI_CI: ; @bluestein_single_fwd_len990_dim1_dp_op_CI_CI
; %bb.0:
	s_load_b128 s[8:11], s[0:1], 0x28
	v_mul_u32_u24_e32 v1, 0x254, v0
	s_mov_b32 s2, exec_lo
	v_mov_b32_e32 v206, 0
	s_delay_alu instid0(VALU_DEP_2) | instskip(NEXT) | instid1(VALU_DEP_1)
	v_lshrrev_b32_e32 v1, 16, v1
	v_add_nc_u32_e32 v205, s15, v1
	s_waitcnt lgkmcnt(0)
	s_delay_alu instid0(VALU_DEP_1)
	v_cmpx_gt_u64_e64 s[8:9], v[205:206]
	s_cbranch_execz .LBB0_31
; %bb.1:
	s_clause 0x1
	s_load_b128 s[4:7], s[0:1], 0x18
	s_load_b64 s[2:3], s[0:1], 0x0
	v_mul_lo_u16 v1, 0x6e, v1
	s_delay_alu instid0(VALU_DEP_1) | instskip(NEXT) | instid1(VALU_DEP_1)
	v_sub_nc_u16 v66, v0, v1
	v_and_b32_e32 v206, 0xffff, v66
	s_waitcnt lgkmcnt(0)
	s_load_b128 s[12:15], s[4:5], 0x0
	s_waitcnt lgkmcnt(0)
	v_mad_u64_u32 v[0:1], null, s14, v205, 0
	v_mad_u64_u32 v[2:3], null, s12, v206, 0
	s_mul_hi_u32 s5, s12, 0x1ef
	s_mul_hi_u32 s9, s12, 0xfffffe7f
	s_mul_i32 s8, s13, 0xfffffe7f
	s_delay_alu instid0(VALU_DEP_1) | instskip(NEXT) | instid1(VALU_DEP_1)
	v_mad_u64_u32 v[6:7], null, s15, v205, v[1:2]
	v_mov_b32_e32 v1, v6
	v_lshlrev_b32_e32 v255, 4, v206
	s_clause 0x2
	global_load_b128 v[67:70], v255, s[2:3]
	global_load_b128 v[71:74], v255, s[2:3] offset:1760
	global_load_b128 v[75:78], v255, s[2:3] offset:3520
	v_add_co_u32 v184, s4, s2, v255
	s_delay_alu instid0(VALU_DEP_1) | instskip(SKIP_1) | instid1(VALU_DEP_3)
	v_add_co_ci_u32_e64 v156, null, s3, 0, s4
	v_lshlrev_b64 v[0:1], 4, v[0:1]
	v_add_co_u32 v209, vcc_lo, 0x1000, v184
	s_delay_alu instid0(VALU_DEP_3) | instskip(SKIP_3) | instid1(VALU_DEP_3)
	v_add_co_ci_u32_e32 v210, vcc_lo, 0, v156, vcc_lo
	v_add_co_u32 v4, vcc_lo, 0x2000, v184
	v_add_co_ci_u32_e32 v5, vcc_lo, 0, v156, vcc_lo
	v_add_co_u32 v217, vcc_lo, 0x3000, v184
	v_mad_u64_u32 v[7:8], null, s13, v206, v[3:4]
	v_add_co_ci_u32_e32 v218, vcc_lo, 0, v156, vcc_lo
	v_add_co_u32 v0, vcc_lo, s10, v0
	v_add_co_ci_u32_e32 v1, vcc_lo, s11, v1, vcc_lo
	s_delay_alu instid0(VALU_DEP_4)
	v_mov_b32_e32 v3, v7
	s_mul_i32 s3, s13, 0x1ef
	s_mul_i32 s2, s12, 0x1ef
	s_add_i32 s3, s5, s3
	s_sub_i32 s5, s9, s12
	v_lshlrev_b64 v[2:3], 4, v[2:3]
	s_lshl_b64 s[10:11], s[2:3], 4
	s_mul_i32 s4, s12, 0xfffffe7f
	s_add_i32 s5, s5, s8
	global_load_b128 v[87:90], v[209:210], off offset:3824
	s_lshl_b64 s[2:3], s[4:5], 4
	v_add_co_u32 v0, vcc_lo, v0, v2
	v_add_co_ci_u32_e32 v1, vcc_lo, v1, v3, vcc_lo
	s_clause 0x1
	global_load_b128 v[83:86], v[4:5], off offset:1488
	global_load_b128 v[79:82], v[4:5], off offset:3248
	v_add_co_u32 v6, vcc_lo, v0, s10
	v_add_co_ci_u32_e32 v7, vcc_lo, s11, v1, vcc_lo
	s_delay_alu instid0(VALU_DEP_2) | instskip(NEXT) | instid1(VALU_DEP_2)
	v_add_co_u32 v10, vcc_lo, v6, s2
	v_add_co_ci_u32_e32 v11, vcc_lo, s3, v7, vcc_lo
	s_clause 0x1
	global_load_b128 v[2:5], v[0:1], off
	global_load_b128 v[6:9], v[6:7], off
	v_add_co_u32 v14, vcc_lo, v10, s10
	v_add_co_ci_u32_e32 v15, vcc_lo, s11, v11, vcc_lo
	s_delay_alu instid0(VALU_DEP_2) | instskip(NEXT) | instid1(VALU_DEP_2)
	v_add_co_u32 v18, vcc_lo, v14, s2
	v_add_co_ci_u32_e32 v19, vcc_lo, s3, v15, vcc_lo
	s_clause 0x1
	global_load_b128 v[10:13], v[10:11], off
	global_load_b128 v[14:17], v[14:15], off
	v_add_co_u32 v22, vcc_lo, v18, s10
	v_add_co_ci_u32_e32 v23, vcc_lo, s11, v19, vcc_lo
	global_load_b128 v[18:21], v[18:19], off
	v_add_co_u32 v26, vcc_lo, v22, s2
	v_add_co_ci_u32_e32 v27, vcc_lo, s3, v23, vcc_lo
	s_delay_alu instid0(VALU_DEP_2) | instskip(NEXT) | instid1(VALU_DEP_2)
	v_add_co_u32 v0, vcc_lo, v26, s10
	v_add_co_ci_u32_e32 v1, vcc_lo, s11, v27, vcc_lo
	global_load_b128 v[22:25], v[22:23], off
	global_load_b128 v[91:94], v[209:210], off offset:1184
	global_load_b128 v[26:29], v[26:27], off
	global_load_b128 v[95:98], v[217:218], off offset:912
	global_load_b128 v[30:33], v[0:1], off
	v_cmp_gt_u16_e32 vcc_lo, 55, v66
	s_waitcnt vmcnt(15)
	scratch_store_b128 off, v[67:70], off   ; 16-byte Folded Spill
	s_waitcnt vmcnt(14)
	scratch_store_b128 off, v[71:74], off offset:16 ; 16-byte Folded Spill
	s_waitcnt vmcnt(13)
	scratch_store_b128 off, v[75:78], off offset:32 ; 16-byte Folded Spill
	;; [unrolled: 2-line block ×5, first 2 shown]
	s_waitcnt vmcnt(9)
	v_mul_f64 v[34:35], v[4:5], v[69:70]
	v_mul_f64 v[36:37], v[2:3], v[69:70]
	s_waitcnt vmcnt(8)
	v_mul_f64 v[38:39], v[8:9], v[89:90]
	v_mul_f64 v[40:41], v[6:7], v[89:90]
	s_waitcnt vmcnt(7)
	v_mul_f64 v[42:43], v[12:13], v[73:74]
	v_mul_f64 v[44:45], v[10:11], v[73:74]
	s_waitcnt vmcnt(6)
	v_mul_f64 v[46:47], v[16:17], v[85:86]
	v_mul_f64 v[48:49], v[14:15], v[85:86]
	s_waitcnt vmcnt(5)
	v_mul_f64 v[50:51], v[20:21], v[77:78]
	v_mul_f64 v[52:53], v[18:19], v[77:78]
	s_waitcnt vmcnt(4)
	v_mul_f64 v[54:55], v[24:25], v[81:82]
	v_mul_f64 v[56:57], v[22:23], v[81:82]
	s_waitcnt vmcnt(2)
	v_mul_f64 v[58:59], v[28:29], v[93:94]
	v_mul_f64 v[60:61], v[26:27], v[93:94]
	s_waitcnt vmcnt(0)
	v_mul_f64 v[62:63], v[32:33], v[97:98]
	v_mul_f64 v[64:65], v[30:31], v[97:98]
	s_clause 0x1
	scratch_store_b128 off, v[91:94], off offset:96
	scratch_store_b128 off, v[95:98], off offset:112
	s_load_b64 s[8:9], s[0:1], 0x38
	s_load_b128 s[4:7], s[6:7], 0x0
	v_fma_f64 v[2:3], v[2:3], v[67:68], v[34:35]
	v_fma_f64 v[4:5], v[4:5], v[67:68], -v[36:37]
	v_fma_f64 v[6:7], v[6:7], v[87:88], v[38:39]
	v_fma_f64 v[8:9], v[8:9], v[87:88], -v[40:41]
	;; [unrolled: 2-line block ×4, first 2 shown]
	ds_store_b128 v255, v[2:5]
	ds_store_b128 v255, v[10:13] offset:1760
	ds_store_b128 v255, v[6:9] offset:7920
	;; [unrolled: 1-line block ×3, first 2 shown]
	v_fma_f64 v[18:19], v[18:19], v[75:76], v[50:51]
	v_fma_f64 v[20:21], v[20:21], v[75:76], -v[52:53]
	v_fma_f64 v[26:27], v[26:27], v[91:92], v[58:59]
	v_fma_f64 v[28:29], v[28:29], v[91:92], -v[60:61]
	;; [unrolled: 2-line block ×4, first 2 shown]
	ds_store_b128 v255, v[18:21] offset:3520
	ds_store_b128 v255, v[26:29] offset:5280
	;; [unrolled: 1-line block ×4, first 2 shown]
	s_and_saveexec_b32 s12, vcc_lo
	s_cbranch_execz .LBB0_3
; %bb.2:
	v_add_co_u32 v0, s2, v0, s2
	s_delay_alu instid0(VALU_DEP_1) | instskip(NEXT) | instid1(VALU_DEP_2)
	v_add_co_ci_u32_e64 v1, s2, s3, v1, s2
	v_add_co_u32 v12, s2, v0, s10
	s_delay_alu instid0(VALU_DEP_1)
	v_add_co_ci_u32_e64 v13, s2, s11, v1, s2
	global_load_b128 v[0:3], v[0:1], off
	s_clause 0x1
	global_load_b128 v[4:7], v[209:210], off offset:2944
	global_load_b128 v[8:11], v[217:218], off offset:2672
	global_load_b128 v[12:15], v[12:13], off
	s_waitcnt vmcnt(2)
	v_mul_f64 v[16:17], v[2:3], v[6:7]
	v_mul_f64 v[6:7], v[0:1], v[6:7]
	s_waitcnt vmcnt(0)
	v_mul_f64 v[18:19], v[14:15], v[10:11]
	v_mul_f64 v[10:11], v[12:13], v[10:11]
	s_delay_alu instid0(VALU_DEP_4) | instskip(NEXT) | instid1(VALU_DEP_4)
	v_fma_f64 v[0:1], v[0:1], v[4:5], v[16:17]
	v_fma_f64 v[2:3], v[2:3], v[4:5], -v[6:7]
	s_delay_alu instid0(VALU_DEP_4) | instskip(NEXT) | instid1(VALU_DEP_4)
	v_fma_f64 v[4:5], v[12:13], v[8:9], v[18:19]
	v_fma_f64 v[6:7], v[14:15], v[8:9], -v[10:11]
	ds_store_b128 v255, v[0:3] offset:7040
	ds_store_b128 v255, v[4:7] offset:14960
.LBB0_3:
	s_or_b32 exec_lo, exec_lo, s12
	s_waitcnt lgkmcnt(0)
	s_waitcnt_vscnt null, 0x0
	s_barrier
	buffer_gl0_inv
	ds_load_b128 v[40:43], v255
	ds_load_b128 v[44:47], v255 offset:1760
	ds_load_b128 v[68:71], v255 offset:7920
	;; [unrolled: 1-line block ×7, first 2 shown]
	s_load_b64 s[2:3], s[0:1], 0x8
                                        ; implicit-def: $vgpr32_vgpr33
                                        ; implicit-def: $vgpr52_vgpr53
	s_and_saveexec_b32 s0, vcc_lo
	s_cbranch_execz .LBB0_5
; %bb.4:
	ds_load_b128 v[32:35], v255 offset:7040
	ds_load_b128 v[52:55], v255 offset:14960
.LBB0_5:
	s_or_b32 exec_lo, exec_lo, s0
	s_waitcnt lgkmcnt(0)
	v_add_f64 v[2:3], v[40:41], -v[68:69]
	v_add_f64 v[4:5], v[42:43], -v[70:71]
	;; [unrolled: 1-line block ×10, first 2 shown]
	v_lshlrev_b16 v30, 1, v206
	v_add_co_u32 v1, s0, 0xdc, v206
	s_delay_alu instid0(VALU_DEP_1) | instskip(SKIP_1) | instid1(VALU_DEP_4)
	v_add_co_ci_u32_e64 v31, null, 0, 0, s0
	v_add_co_u32 v0, null, 0x6e, v206
	v_and_b32_e32 v30, 0xffff, v30
	v_add_co_u32 v31, null, 0x1b8, v206
	s_delay_alu instid0(VALU_DEP_3) | instskip(SKIP_1) | instid1(VALU_DEP_4)
	v_lshlrev_b32_e32 v231, 5, v0
	v_lshlrev_b32_e32 v232, 5, v1
	;; [unrolled: 1-line block ×3, first 2 shown]
	s_delay_alu instid0(VALU_DEP_4)
	v_lshlrev_b32_e32 v222, 5, v31
	s_barrier
	buffer_gl0_inv
	v_fma_f64 v[18:19], v[40:41], 2.0, -v[2:3]
	v_fma_f64 v[20:21], v[42:43], 2.0, -v[4:5]
	;; [unrolled: 1-line block ×8, first 2 shown]
	v_lshlrev_b32_e32 v40, 5, v206
	ds_store_b128 v228, v[18:21]
	ds_store_b128 v228, v[2:5] offset:16
	ds_store_b128 v231, v[22:25]
	ds_store_b128 v231, v[6:9] offset:16
	;; [unrolled: 2-line block ×3, first 2 shown]
	ds_store_b128 v40, v[36:39] offset:10560
	scratch_store_b32 off, v40, off offset:128 ; 4-byte Folded Spill
	ds_store_b128 v40, v[14:17] offset:10576
	s_and_saveexec_b32 s0, vcc_lo
	s_cbranch_execz .LBB0_7
; %bb.6:
	v_fma_f64 v[4:5], v[34:35], 2.0, -v[66:67]
	v_fma_f64 v[2:3], v[32:33], 2.0, -v[64:65]
	ds_store_b128 v222, v[2:5]
	ds_store_b128 v222, v[64:67] offset:16
.LBB0_7:
	s_or_b32 exec_lo, exec_lo, s0
	v_and_b32_e32 v82, 1, v206
	s_waitcnt lgkmcnt(0)
	s_waitcnt_vscnt null, 0x0
	s_barrier
	buffer_gl0_inv
	s_mov_b32 s0, 0xe8584caa
	v_lshlrev_b32_e32 v2, 5, v82
	s_mov_b32 s1, 0x3febb67a
	s_mov_b32 s11, 0xbfebb67a
	;; [unrolled: 1-line block ×3, first 2 shown]
	v_and_b32_e32 v85, 0xffff, v1
	s_clause 0x1
	global_load_b128 v[36:39], v2, s[2:3]
	global_load_b128 v[32:35], v2, s[2:3] offset:16
	ds_load_b128 v[2:5], v255 offset:5280
	ds_load_b128 v[6:9], v255 offset:10560
	;; [unrolled: 1-line block ×7, first 2 shown]
	v_lshrrev_b32_e32 v83, 1, v0
	v_lshrrev_b32_e32 v84, 1, v1
	s_waitcnt vmcnt(1) lgkmcnt(6)
	v_mul_f64 v[30:31], v[4:5], v[38:39]
	s_waitcnt vmcnt(0) lgkmcnt(5)
	v_mul_f64 v[40:41], v[8:9], v[34:35]
	v_mul_f64 v[42:43], v[2:3], v[38:39]
	;; [unrolled: 1-line block ×3, first 2 shown]
	s_waitcnt lgkmcnt(4)
	v_mul_f64 v[46:47], v[12:13], v[38:39]
	s_waitcnt lgkmcnt(3)
	v_mul_f64 v[48:49], v[16:17], v[34:35]
	v_mul_f64 v[50:51], v[10:11], v[38:39]
	;; [unrolled: 1-line block ×3, first 2 shown]
	s_waitcnt lgkmcnt(2)
	v_mul_f64 v[54:55], v[20:21], v[38:39]
	s_waitcnt lgkmcnt(1)
	v_mul_f64 v[56:57], v[24:25], v[34:35]
	v_mul_f64 v[58:59], v[18:19], v[38:39]
	;; [unrolled: 1-line block ×3, first 2 shown]
	v_fma_f64 v[30:31], v[2:3], v[36:37], -v[30:31]
	v_fma_f64 v[40:41], v[6:7], v[32:33], -v[40:41]
	v_fma_f64 v[42:43], v[4:5], v[36:37], v[42:43]
	v_fma_f64 v[44:45], v[8:9], v[32:33], v[44:45]
	v_fma_f64 v[10:11], v[10:11], v[36:37], -v[46:47]
	v_fma_f64 v[14:15], v[14:15], v[32:33], -v[48:49]
	v_fma_f64 v[12:13], v[12:13], v[36:37], v[50:51]
	v_fma_f64 v[16:17], v[16:17], v[32:33], v[52:53]
	;; [unrolled: 4-line block ×3, first 2 shown]
	ds_load_b128 v[2:5], v255
	ds_load_b128 v[6:9], v255 offset:1760
	s_waitcnt lgkmcnt(0)
	s_barrier
	buffer_gl0_inv
	v_add_f64 v[58:59], v[2:3], v[30:31]
	v_add_f64 v[46:47], v[30:31], v[40:41]
	v_add_f64 v[30:31], v[30:31], -v[40:41]
	v_add_f64 v[48:49], v[42:43], v[44:45]
	v_add_f64 v[60:61], v[42:43], -v[44:45]
	v_add_f64 v[50:51], v[10:11], v[14:15]
	v_add_f64 v[42:43], v[4:5], v[42:43]
	v_add_f64 v[52:53], v[12:13], v[16:17]
	v_add_f64 v[68:69], v[8:9], v[12:13]
	v_add_f64 v[54:55], v[18:19], v[22:23]
	v_add_f64 v[70:71], v[26:27], v[18:19]
	v_add_f64 v[56:57], v[20:21], v[24:25]
	v_add_f64 v[74:75], v[12:13], -v[16:17]
	v_add_f64 v[76:77], v[10:11], -v[14:15]
	;; [unrolled: 1-line block ×4, first 2 shown]
	v_add_f64 v[62:63], v[6:7], v[10:11]
	v_add_f64 v[72:73], v[28:29], v[20:21]
	v_fma_f64 v[46:47], v[46:47], -0.5, v[2:3]
	v_and_b32_e32 v3, 0xff, v206
	v_fma_f64 v[48:49], v[48:49], -0.5, v[4:5]
	v_lshrrev_b32_e32 v4, 1, v206
	v_fma_f64 v[50:51], v[50:51], -0.5, v[6:7]
	v_add_f64 v[6:7], v[42:43], v[44:45]
	v_fma_f64 v[52:53], v[52:53], -0.5, v[8:9]
	v_add_f64 v[10:11], v[68:69], v[16:17]
	v_fma_f64 v[54:55], v[54:55], -0.5, v[26:27]
	v_mul_u32_u24_e32 v86, 6, v4
	v_fma_f64 v[56:57], v[56:57], -0.5, v[28:29]
	v_add_f64 v[4:5], v[58:59], v[40:41]
	v_add_f64 v[12:13], v[70:71], v[22:23]
	v_and_b32_e32 v2, 0xff, v0
	v_add_f64 v[8:9], v[62:63], v[14:15]
	v_add_f64 v[14:15], v[72:73], v[24:25]
	v_fma_f64 v[16:17], v[60:61], s[0:1], v[46:47]
	v_fma_f64 v[20:21], v[60:61], s[10:11], v[46:47]
	;; [unrolled: 1-line block ×12, first 2 shown]
	v_mul_lo_u16 v49, 0xab, v3
	v_mul_u32_u24_e32 v51, 0xaaab, v85
	v_mul_lo_u16 v50, 0xab, v2
	v_mul_u32_u24_e32 v48, 6, v83
	v_mul_u32_u24_e32 v52, 6, v84
	v_lshrrev_b16 v106, 10, v49
	v_lshrrev_b32_e32 v120, 18, v51
	v_lshrrev_b16 v107, 10, v50
	v_or_b32_e32 v53, v86, v82
	v_or_b32_e32 v48, v48, v82
	v_mul_lo_u16 v49, v106, 6
	v_mul_lo_u16 v51, v120, 6
	;; [unrolled: 1-line block ×3, first 2 shown]
	v_lshlrev_b32_e32 v53, 4, v53
	ds_store_b128 v53, v[4:7]
	ds_store_b128 v53, v[16:19] offset:32
	v_sub_nc_u16 v49, v206, v49
	v_sub_nc_u16 v1, v1, v51
	v_sub_nc_u16 v50, v0, v50
	v_or_b32_e32 v51, v52, v82
	v_lshlrev_b32_e32 v52, 4, v48
	v_and_b32_e32 v121, 0xff, v49
	v_lshlrev_b16 v49, 5, v1
	v_and_b32_e32 v122, 0xff, v50
	v_lshlrev_b32_e32 v50, 4, v51
	scratch_store_b32 off, v53, off offset:152 ; 4-byte Folded Spill
	v_lshlrev_b32_e32 v48, 5, v121
	v_and_b32_e32 v49, 0xffff, v49
	v_lshlrev_b32_e32 v56, 5, v122
	ds_store_b128 v53, v[20:23] offset:64
	ds_store_b128 v52, v[8:11]
	ds_store_b128 v52, v[24:27] offset:32
	scratch_store_b32 off, v52, off offset:148 ; 4-byte Folded Spill
	ds_store_b128 v52, v[28:31] offset:64
	ds_store_b128 v50, v[12:15]
	ds_store_b128 v50, v[40:43] offset:32
	v_add_co_u32 v4, s12, s2, v49
	s_delay_alu instid0(VALU_DEP_1)
	v_add_co_ci_u32_e64 v5, null, s3, 0, s12
	scratch_store_b32 off, v50, off offset:144 ; 4-byte Folded Spill
	ds_store_b128 v50, v[44:47] offset:64
	s_waitcnt lgkmcnt(0)
	s_waitcnt_vscnt null, 0x0
	s_barrier
	buffer_gl0_inv
	s_clause 0x5
	global_load_b128 v[40:43], v48, s[2:3] offset:80
	global_load_b128 v[52:55], v48, s[2:3] offset:64
	;; [unrolled: 1-line block ×4, first 2 shown]
	global_load_b128 v[60:63], v[4:5], off offset:64
	global_load_b128 v[56:59], v[4:5], off offset:80
	ds_load_b128 v[4:7], v255 offset:5280
	ds_load_b128 v[8:11], v255 offset:10560
	;; [unrolled: 1-line block ×7, first 2 shown]
	v_mad_u16 v1, v120, 18, v1
	s_delay_alu instid0(VALU_DEP_1) | instskip(NEXT) | instid1(VALU_DEP_1)
	v_and_b32_e32 v1, 0xffff, v1
	v_lshlrev_b32_e32 v1, 4, v1
	s_waitcnt vmcnt(3) lgkmcnt(4)
	v_mul_f64 v[76:77], v[14:15], v[50:51]
	v_mul_f64 v[70:71], v[10:11], v[42:43]
	;; [unrolled: 1-line block ×5, first 2 shown]
	s_waitcnt vmcnt(2) lgkmcnt(3)
	v_mul_f64 v[78:79], v[18:19], v[46:47]
	v_mul_f64 v[80:81], v[12:13], v[50:51]
	;; [unrolled: 1-line block ×3, first 2 shown]
	s_waitcnt vmcnt(1) lgkmcnt(2)
	v_mul_f64 v[84:85], v[22:23], v[62:63]
	s_waitcnt vmcnt(0) lgkmcnt(1)
	v_mul_f64 v[86:87], v[26:27], v[58:59]
	v_mul_f64 v[88:89], v[20:21], v[62:63]
	;; [unrolled: 1-line block ×3, first 2 shown]
	v_fma_f64 v[12:13], v[12:13], v[48:49], -v[76:77]
	v_fma_f64 v[70:71], v[8:9], v[40:41], -v[70:71]
	;; [unrolled: 1-line block ×3, first 2 shown]
	v_fma_f64 v[72:73], v[6:7], v[52:53], v[72:73]
	v_fma_f64 v[74:75], v[10:11], v[40:41], v[74:75]
	v_fma_f64 v[16:17], v[16:17], v[44:45], -v[78:79]
	v_fma_f64 v[14:15], v[14:15], v[48:49], v[80:81]
	v_fma_f64 v[18:19], v[18:19], v[44:45], v[82:83]
	v_fma_f64 v[20:21], v[20:21], v[60:61], -v[84:85]
	v_fma_f64 v[24:25], v[24:25], v[56:57], -v[86:87]
	v_fma_f64 v[22:23], v[22:23], v[60:61], v[88:89]
	v_fma_f64 v[26:27], v[26:27], v[56:57], v[90:91]
	ds_load_b128 v[4:7], v255
	ds_load_b128 v[8:11], v255 offset:1760
	s_waitcnt lgkmcnt(0)
	s_barrier
	buffer_gl0_inv
	v_add_f64 v[92:93], v[8:9], v[12:13]
	v_add_f64 v[76:77], v[68:69], v[70:71]
	;; [unrolled: 1-line block ×5, first 2 shown]
	v_add_f64 v[90:91], v[72:73], -v[74:75]
	v_add_f64 v[82:83], v[14:15], v[18:19]
	v_add_f64 v[72:73], v[6:7], v[72:73]
	;; [unrolled: 1-line block ×7, first 2 shown]
	v_add_f64 v[68:69], v[68:69], -v[70:71]
	v_add_f64 v[100:101], v[14:15], -v[18:19]
	;; [unrolled: 1-line block ×4, first 2 shown]
	v_fma_f64 v[76:77], v[76:77], -0.5, v[4:5]
	v_add_f64 v[4:5], v[88:89], v[70:71]
	v_fma_f64 v[78:79], v[78:79], -0.5, v[6:7]
	v_fma_f64 v[80:81], v[80:81], -0.5, v[8:9]
	v_add_f64 v[8:9], v[92:93], v[16:17]
	v_fma_f64 v[82:83], v[82:83], -0.5, v[10:11]
	v_add_f64 v[6:7], v[72:73], v[74:75]
	v_fma_f64 v[28:29], v[84:85], -0.5, v[28:29]
	v_add_f64 v[84:85], v[20:21], -v[24:25]
	v_fma_f64 v[30:31], v[86:87], -0.5, v[30:31]
	v_add_f64 v[10:11], v[94:95], v[18:19]
	v_add_f64 v[108:109], v[96:97], v[24:25]
	;; [unrolled: 1-line block ×3, first 2 shown]
	v_and_b32_e32 v24, 0xffff, v106
	v_and_b32_e32 v25, 0xffff, v107
	s_delay_alu instid0(VALU_DEP_2) | instskip(NEXT) | instid1(VALU_DEP_2)
	v_mul_u32_u24_e32 v24, 18, v24
	v_mul_u32_u24_e32 v25, 18, v25
	s_delay_alu instid0(VALU_DEP_2) | instskip(NEXT) | instid1(VALU_DEP_2)
	v_add_lshl_u32 v26, v24, v121, 4
	v_add_lshl_u32 v24, v25, v122, 4
	v_fma_f64 v[16:17], v[90:91], s[10:11], v[76:77]
	v_fma_f64 v[12:13], v[90:91], s[0:1], v[76:77]
	v_fma_f64 v[18:19], v[68:69], s[0:1], v[78:79]
	v_fma_f64 v[20:21], v[100:101], s[0:1], v[80:81]
	v_fma_f64 v[100:101], v[100:101], s[10:11], v[80:81]
	v_fma_f64 v[22:23], v[102:103], s[10:11], v[82:83]
	v_fma_f64 v[102:103], v[102:103], s[0:1], v[82:83]
	v_fma_f64 v[116:117], v[104:105], s[10:11], v[28:29]
	v_fma_f64 v[14:15], v[68:69], s[10:11], v[78:79]
	v_fma_f64 v[118:119], v[84:85], s[0:1], v[30:31]
	v_fma_f64 v[112:113], v[104:105], s[0:1], v[28:29]
	v_fma_f64 v[114:115], v[84:85], s[10:11], v[30:31]
	ds_store_b128 v26, v[4:7]
	ds_store_b128 v26, v[12:15] offset:96
	scratch_store_b32 off, v26, off offset:140 ; 4-byte Folded Spill
	ds_store_b128 v26, v[16:19] offset:192
	ds_store_b128 v24, v[8:11]
	ds_store_b128 v24, v[20:23] offset:96
	scratch_store_b32 off, v24, off offset:136 ; 4-byte Folded Spill
	ds_store_b128 v24, v[100:103] offset:192
	;; [unrolled: 4-line block ×3, first 2 shown]
	s_waitcnt lgkmcnt(0)
	s_waitcnt_vscnt null, 0x0
	s_barrier
	buffer_gl0_inv
	ds_load_b128 v[104:107], v255
	ds_load_b128 v[132:135], v255 offset:3168
	ds_load_b128 v[120:123], v255 offset:6336
	;; [unrolled: 1-line block ×4, first 2 shown]
	v_cmp_gt_u16_e64 s0, 0x58, v206
	s_delay_alu instid0(VALU_DEP_1)
	s_and_saveexec_b32 s1, s0
	s_cbranch_execz .LBB0_9
; %bb.8:
	ds_load_b128 v[100:103], v255 offset:1760
	ds_load_b128 v[108:111], v255 offset:4928
	ds_load_b128 v[112:115], v255 offset:8096
	ds_load_b128 v[116:119], v255 offset:11264
	ds_load_b128 v[64:67], v255 offset:14432
.LBB0_9:
	s_or_b32 exec_lo, exec_lo, s1
	v_mul_lo_u16 v1, v3, 57
	s_mov_b32 s10, 0x134454ff
	s_mov_b32 s11, 0x3fee6f0e
	s_mov_b32 s13, 0xbfee6f0e
	s_mov_b32 s12, s10
	v_lshrrev_b16 v169, 10, v1
	v_mul_lo_u16 v1, v2, 57
	s_delay_alu instid0(VALU_DEP_2) | instskip(NEXT) | instid1(VALU_DEP_2)
	v_mul_lo_u16 v2, v169, 18
	v_lshrrev_b16 v221, 10, v1
	s_delay_alu instid0(VALU_DEP_2) | instskip(NEXT) | instid1(VALU_DEP_2)
	v_sub_nc_u16 v1, v206, v2
	v_mul_lo_u16 v2, v221, 18
	s_delay_alu instid0(VALU_DEP_2) | instskip(NEXT) | instid1(VALU_DEP_2)
	v_and_b32_e32 v170, 0xff, v1
	v_sub_nc_u16 v0, v0, v2
	s_delay_alu instid0(VALU_DEP_2) | instskip(NEXT) | instid1(VALU_DEP_2)
	v_lshlrev_b32_e32 v1, 6, v170
	v_and_b32_e32 v227, 0xff, v0
	s_clause 0x2
	global_load_b128 v[80:83], v1, s[2:3] offset:256
	global_load_b128 v[72:75], v1, s[2:3] offset:272
	;; [unrolled: 1-line block ×3, first 2 shown]
	v_lshlrev_b32_e32 v0, 6, v227
	s_clause 0x4
	global_load_b128 v[76:79], v1, s[2:3] offset:304
	global_load_b128 v[96:99], v0, s[2:3] offset:256
	;; [unrolled: 1-line block ×5, first 2 shown]
	s_waitcnt vmcnt(0) lgkmcnt(0)
	s_barrier
	buffer_gl0_inv
	v_mul_f64 v[0:1], v[134:135], v[82:83]
	v_mul_f64 v[2:3], v[122:123], v[74:75]
	;; [unrolled: 1-line block ×16, first 2 shown]
	v_fma_f64 v[0:1], v[132:133], v[80:81], -v[0:1]
	v_fma_f64 v[2:3], v[120:121], v[72:73], -v[2:3]
	;; [unrolled: 1-line block ×3, first 2 shown]
	v_fma_f64 v[6:7], v[134:135], v[80:81], v[6:7]
	v_fma_f64 v[8:9], v[128:129], v[76:77], -v[8:9]
	v_fma_f64 v[10:11], v[122:123], v[72:73], v[10:11]
	v_fma_f64 v[12:13], v[126:127], v[68:69], v[12:13]
	;; [unrolled: 1-line block ×3, first 2 shown]
	v_fma_f64 v[16:17], v[108:109], v[96:97], -v[16:17]
	v_fma_f64 v[18:19], v[112:113], v[92:93], -v[18:19]
	;; [unrolled: 1-line block ×3, first 2 shown]
	v_fma_f64 v[22:23], v[110:111], v[96:97], v[22:23]
	v_fma_f64 v[24:25], v[64:65], v[84:85], -v[24:25]
	v_fma_f64 v[26:27], v[114:115], v[92:93], v[26:27]
	v_fma_f64 v[28:29], v[118:119], v[88:89], v[28:29]
	;; [unrolled: 1-line block ×3, first 2 shown]
	v_add_f64 v[120:121], v[104:105], v[0:1]
	v_add_f64 v[64:65], v[2:3], v[4:5]
	;; [unrolled: 1-line block ×4, first 2 shown]
	v_add_f64 v[132:133], v[0:1], -v[8:9]
	v_add_f64 v[108:109], v[10:11], v[12:13]
	v_add_f64 v[110:111], v[6:7], v[14:15]
	v_add_f64 v[122:123], v[6:7], -v[14:15]
	v_add_f64 v[124:125], v[10:11], -v[12:13]
	v_add_f64 v[112:113], v[18:19], v[20:21]
	v_add_f64 v[128:129], v[100:101], v[16:17]
	;; [unrolled: 1-line block ×6, first 2 shown]
	v_add_f64 v[134:135], v[22:23], -v[30:31]
	v_add_f64 v[136:137], v[16:17], -v[24:25]
	;; [unrolled: 1-line block ×16, first 2 shown]
	v_fma_f64 v[64:65], v[64:65], -0.5, v[104:105]
	v_add_f64 v[10:11], v[126:127], v[10:11]
	v_fma_f64 v[66:67], v[66:67], -0.5, v[104:105]
	v_add_f64 v[104:105], v[2:3], -v[4:5]
	v_fma_f64 v[108:109], v[108:109], -0.5, v[106:107]
	v_fma_f64 v[106:107], v[110:111], -0.5, v[106:107]
	v_add_f64 v[110:111], v[26:27], -v[28:29]
	v_fma_f64 v[112:113], v[112:113], -0.5, v[100:101]
	;; [unrolled: 3-line block ×3, first 2 shown]
	v_fma_f64 v[102:103], v[118:119], -0.5, v[102:103]
	v_add_f64 v[118:119], v[0:1], -v[2:3]
	v_add_f64 v[0:1], v[2:3], -v[0:1]
	v_add_f64 v[2:3], v[120:121], v[2:3]
	v_add_f64 v[18:19], v[128:129], v[18:19]
	;; [unrolled: 1-line block ×7, first 2 shown]
	v_fma_f64 v[120:121], v[122:123], s[10:11], v[64:65]
	v_fma_f64 v[64:65], v[122:123], s[12:13], v[64:65]
	;; [unrolled: 1-line block ×16, first 2 shown]
	s_mov_b32 s10, 0x4755a5e
	s_mov_b32 s11, 0x3fe2cf23
	;; [unrolled: 1-line block ×4, first 2 shown]
	v_add_f64 v[118:119], v[118:119], v[138:139]
	v_add_f64 v[0:1], v[0:1], v[140:141]
	v_add_f64 v[140:141], v[142:143], v[144:145]
	v_add_f64 v[142:143], v[148:149], v[150:151]
	v_add_f64 v[2:3], v[2:3], v[4:5]
	v_add_f64 v[4:5], v[10:11], v[12:13]
	v_add_f64 v[10:11], v[18:19], v[20:21]
	v_add_f64 v[12:13], v[26:27], v[28:29]
	v_fma_f64 v[18:19], v[124:125], s[10:11], v[120:121]
	v_fma_f64 v[20:21], v[124:125], s[12:13], v[64:65]
	;; [unrolled: 1-line block ×16, first 2 shown]
	s_mov_b32 s10, 0x372fe950
	s_mov_b32 s11, 0x3fd3c6ef
	v_add_f64 v[148:149], v[2:3], v[8:9]
	v_add_f64 v[150:151], v[4:5], v[14:15]
	;; [unrolled: 1-line block ×4, first 2 shown]
	v_fma_f64 v[104:105], v[118:119], s[10:11], v[18:19]
	v_fma_f64 v[128:129], v[118:119], s[10:11], v[20:21]
	;; [unrolled: 1-line block ×16, first 2 shown]
	v_and_b32_e32 v0, 0xffff, v169
	s_delay_alu instid0(VALU_DEP_1) | instskip(NEXT) | instid1(VALU_DEP_1)
	v_mul_u32_u24_e32 v0, 0x5a, v0
	v_add_lshl_u32 v0, v0, v170, 4
	ds_store_b128 v0, v[148:151]
	ds_store_b128 v0, v[104:107] offset:288
	ds_store_b128 v0, v[112:115] offset:576
	ds_store_b128 v0, v[116:119] offset:864
	scratch_store_b32 off, v0, off offset:156 ; 4-byte Folded Spill
	ds_store_b128 v0, v[128:131] offset:1152
	s_and_saveexec_b32 s1, s0
	s_cbranch_execz .LBB0_11
; %bb.10:
	v_and_b32_e32 v0, 0xffff, v221
	s_delay_alu instid0(VALU_DEP_1) | instskip(NEXT) | instid1(VALU_DEP_1)
	v_mul_u32_u24_e32 v0, 0x5a, v0
	v_add_lshl_u32 v0, v0, v227, 4
	ds_store_b128 v0, v[136:139]
	ds_store_b128 v0, v[140:143] offset:288
	ds_store_b128 v0, v[132:135] offset:576
	;; [unrolled: 1-line block ×4, first 2 shown]
.LBB0_11:
	s_or_b32 exec_lo, exec_lo, s1
	v_cmp_gt_u16_e64 s1, 0x5a, v206
	s_waitcnt lgkmcnt(0)
	s_waitcnt_vscnt null, 0x0
	s_barrier
	buffer_gl0_inv
                                        ; implicit-def: $vgpr124_vgpr125
	s_and_saveexec_b32 s10, s1
	s_cbranch_execz .LBB0_13
; %bb.12:
	ds_load_b128 v[148:151], v255
	ds_load_b128 v[104:107], v255 offset:1440
	ds_load_b128 v[112:115], v255 offset:2880
	;; [unrolled: 1-line block ×10, first 2 shown]
.LBB0_13:
	s_or_b32 exec_lo, exec_lo, s10
	v_add_nc_u32_e32 v0, 0xffffffa6, v206
	s_mov_b32 s14, 0xf8bb580b
	s_mov_b32 s15, 0xbfe14ced
	;; [unrolled: 1-line block ×4, first 2 shown]
	v_cndmask_b32_e64 v0, v0, v206, s1
	s_mov_b32 s13, 0xbfed1bb4
	s_mov_b32 s11, 0x3feaeb8c
	s_mov_b32 s18, 0x43842ef
	s_mov_b32 s19, 0xbfefac9e
	v_mul_i32_i24_e32 v1, 0xa0, v0
	v_mul_hi_i32_i24_e32 v2, 0xa0, v0
	s_mov_b32 s16, 0x640f44db
	s_mov_b32 s17, 0xbfc2375f
	;; [unrolled: 1-line block ×3, first 2 shown]
	v_add_co_u32 v0, s2, s2, v1
	s_delay_alu instid0(VALU_DEP_1)
	v_add_co_ci_u32_e64 v1, s2, s3, v2, s2
	s_mov_b32 s2, 0xd9c712b6
	s_mov_b32 s3, 0x3fda9628
	;; [unrolled: 1-line block ×3, first 2 shown]
	s_clause 0x1
	global_load_b128 v[4:7], v[0:1], off offset:1408
	global_load_b128 v[100:103], v[0:1], off offset:1424
	s_mov_b32 s20, 0x7f775887
	s_mov_b32 s21, 0xbfe4f49e
	s_mov_b32 s24, 0xfd768dbf
	s_mov_b32 s25, 0x3fd207e7
	s_mov_b32 s27, 0xbfd207e7
	s_mov_b32 s26, s24
	s_mov_b32 s22, 0x9bcd5057
	s_mov_b32 s23, 0xbfeeb42a
	s_mov_b32 s31, 0x3fefac9e
	s_mov_b32 s30, s18
	s_mov_b32 s29, 0x3fe14ced
	s_mov_b32 s28, s14
	s_mov_b32 s37, 0x3fed1bb4
	s_mov_b32 s36, s12
	s_waitcnt vmcnt(1) lgkmcnt(9)
	v_mul_f64 v[2:3], v[106:107], v[6:7]
	scratch_store_b128 off, v[4:7], off offset:160 ; 16-byte Folded Spill
	v_fma_f64 v[197:198], v[104:105], v[4:5], -v[2:3]
	v_mul_f64 v[2:3], v[104:105], v[6:7]
	s_delay_alu instid0(VALU_DEP_1)
	v_fma_f64 v[199:200], v[106:107], v[4:5], v[2:3]
	s_clause 0x1
	global_load_b128 v[104:107], v[0:1], off offset:1552
	global_load_b128 v[108:111], v[0:1], off offset:1536
	s_waitcnt vmcnt(1) lgkmcnt(0)
	v_mul_f64 v[2:3], v[124:125], v[106:107]
	s_delay_alu instid0(VALU_DEP_1) | instskip(SKIP_1) | instid1(VALU_DEP_2)
	v_fma_f64 v[159:160], v[126:127], v[104:105], v[2:3]
	v_mul_f64 v[2:3], v[126:127], v[106:107]
	v_add_f64 v[4:5], v[199:200], -v[159:160]
	s_delay_alu instid0(VALU_DEP_2) | instskip(SKIP_2) | instid1(VALU_DEP_4)
	v_fma_f64 v[161:162], v[124:125], v[104:105], -v[2:3]
	v_mul_f64 v[2:3], v[114:115], v[102:103]
	v_add_f64 v[26:27], v[199:200], v[159:160]
	v_mul_f64 v[249:250], v[4:5], s[14:15]
	s_delay_alu instid0(VALU_DEP_4) | instskip(NEXT) | instid1(VALU_DEP_4)
	v_add_f64 v[253:254], v[197:198], v[161:162]
	v_fma_f64 v[167:168], v[112:113], v[100:101], -v[2:3]
	v_mul_f64 v[2:3], v[112:113], v[102:103]
	v_add_f64 v[28:29], v[197:198], -v[161:162]
	v_mul_f64 v[30:31], v[4:5], s[12:13]
	v_mul_f64 v[152:153], v[4:5], s[18:19]
	s_delay_alu instid0(VALU_DEP_4)
	v_fma_f64 v[169:170], v[114:115], v[100:101], v[2:3]
	s_waitcnt vmcnt(0)
	v_mul_f64 v[2:3], v[120:121], v[110:111]
	v_mul_f64 v[24:25], v[28:29], s[14:15]
	;; [unrolled: 1-line block ×4, first 2 shown]
	s_delay_alu instid0(VALU_DEP_4) | instskip(SKIP_1) | instid1(VALU_DEP_2)
	v_fma_f64 v[247:248], v[122:123], v[108:109], v[2:3]
	v_mul_f64 v[2:3], v[122:123], v[110:111]
	v_add_f64 v[201:202], v[169:170], -v[247:248]
	s_delay_alu instid0(VALU_DEP_2)
	v_fma_f64 v[165:166], v[120:121], v[108:109], -v[2:3]
	s_clause 0x1
	global_load_b128 v[112:115], v[0:1], off offset:1440
	global_load_b128 v[120:123], v[0:1], off offset:1456
	v_add_f64 v[203:204], v[169:170], v[247:248]
	v_mul_f64 v[251:252], v[201:202], s[24:25]
	v_add_f64 v[193:194], v[167:168], v[165:166]
	v_add_f64 v[211:212], v[167:168], -v[165:166]
	s_delay_alu instid0(VALU_DEP_1) | instskip(SKIP_3) | instid1(VALU_DEP_1)
	v_mul_f64 v[6:7], v[211:212], s[12:13]
	v_mul_f64 v[180:181], v[211:212], s[34:35]
	s_waitcnt vmcnt(1)
	v_mul_f64 v[2:3], v[118:119], v[114:115]
	v_fma_f64 v[171:172], v[116:117], v[112:113], -v[2:3]
	v_mul_f64 v[2:3], v[116:117], v[114:115]
	s_delay_alu instid0(VALU_DEP_1)
	v_fma_f64 v[173:174], v[118:119], v[112:113], v[2:3]
	s_clause 0x1
	global_load_b128 v[116:119], v[0:1], off offset:1520
	global_load_b128 v[124:127], v[0:1], off offset:1504
	s_waitcnt vmcnt(1)
	v_mul_f64 v[2:3], v[144:145], v[118:119]
	s_delay_alu instid0(VALU_DEP_1) | instskip(SKIP_1) | instid1(VALU_DEP_2)
	v_fma_f64 v[175:176], v[146:147], v[116:117], v[2:3]
	v_mul_f64 v[2:3], v[146:147], v[118:119]
	v_add_f64 v[213:214], v[173:174], -v[175:176]
	s_delay_alu instid0(VALU_DEP_2) | instskip(SKIP_2) | instid1(VALU_DEP_4)
	v_fma_f64 v[177:178], v[144:145], v[116:117], -v[2:3]
	v_mul_f64 v[2:3], v[130:131], v[122:123]
	v_add_f64 v[215:216], v[173:174], v[175:176]
	v_mul_f64 v[163:164], v[213:214], s[24:25]
	s_delay_alu instid0(VALU_DEP_4) | instskip(NEXT) | instid1(VALU_DEP_4)
	v_add_f64 v[207:208], v[171:172], v[177:178]
	v_fma_f64 v[185:186], v[128:129], v[120:121], -v[2:3]
	v_mul_f64 v[2:3], v[128:129], v[122:123]
	v_add_f64 v[223:224], v[171:172], -v[177:178]
	s_delay_alu instid0(VALU_DEP_2) | instskip(SKIP_2) | instid1(VALU_DEP_1)
	v_fma_f64 v[189:190], v[130:131], v[120:121], v[2:3]
	s_waitcnt vmcnt(0)
	v_mul_f64 v[2:3], v[134:135], v[126:127]
	v_fma_f64 v[235:236], v[132:133], v[124:125], -v[2:3]
	v_mul_f64 v[2:3], v[132:133], v[126:127]
	s_delay_alu instid0(VALU_DEP_2) | instskip(NEXT) | instid1(VALU_DEP_2)
	v_add_f64 v[219:220], v[185:186], v[235:236]
	v_fma_f64 v[187:188], v[134:135], v[124:125], v[2:3]
	s_clause 0x1
	global_load_b128 v[128:131], v[0:1], off offset:1472
	global_load_b128 v[132:135], v[0:1], off offset:1488
	v_mul_f64 v[2:3], v[201:202], s[12:13]
	v_add_f64 v[239:240], v[185:186], -v[235:236]
	scratch_store_b64 off, v[6:7], off offset:184 ; 8-byte Folded Spill
	v_fma_f64 v[6:7], v[203:204], s[2:3], -v[6:7]
	v_add_f64 v[237:238], v[189:190], -v[187:188]
	v_add_f64 v[229:230], v[189:190], v[187:188]
	scratch_store_b64 off, v[2:3], off offset:176 ; 8-byte Folded Spill
	v_fma_f64 v[2:3], v[193:194], s[2:3], v[2:3]
	v_mul_f64 v[182:183], v[237:238], s[30:31]
	s_waitcnt vmcnt(1)
	v_mul_f64 v[0:1], v[138:139], v[130:131]
	s_delay_alu instid0(VALU_DEP_1) | instskip(SKIP_1) | instid1(VALU_DEP_1)
	v_fma_f64 v[191:192], v[136:137], v[128:129], -v[0:1]
	v_mul_f64 v[0:1], v[136:137], v[130:131]
	v_fma_f64 v[64:65], v[138:139], v[128:129], v[0:1]
	s_waitcnt vmcnt(0)
	v_mul_f64 v[0:1], v[142:143], v[134:135]
	s_delay_alu instid0(VALU_DEP_1) | instskip(SKIP_1) | instid1(VALU_DEP_2)
	v_fma_f64 v[66:67], v[140:141], v[132:133], -v[0:1]
	v_mul_f64 v[0:1], v[140:141], v[134:135]
	v_add_f64 v[225:226], v[191:192], v[66:67]
	s_delay_alu instid0(VALU_DEP_2) | instskip(SKIP_2) | instid1(VALU_DEP_3)
	v_fma_f64 v[245:246], v[142:143], v[132:133], v[0:1]
	v_fma_f64 v[0:1], v[253:254], s[10:11], v[249:250]
	v_add_f64 v[241:242], v[191:192], -v[66:67]
	v_add_f64 v[243:244], v[64:65], -v[245:246]
	s_delay_alu instid0(VALU_DEP_3) | instskip(SKIP_1) | instid1(VALU_DEP_4)
	v_add_f64 v[0:1], v[148:149], v[0:1]
	v_add_f64 v[233:234], v[64:65], v[245:246]
	v_mul_f64 v[16:17], v[241:242], s[28:29]
	s_delay_alu instid0(VALU_DEP_3) | instskip(SKIP_1) | instid1(VALU_DEP_1)
	v_add_f64 v[0:1], v[2:3], v[0:1]
	v_fma_f64 v[2:3], v[26:27], s[10:11], -v[24:25]
	v_add_f64 v[2:3], v[150:151], v[2:3]
	s_delay_alu instid0(VALU_DEP_1) | instskip(SKIP_3) | instid1(VALU_DEP_1)
	v_add_f64 v[2:3], v[6:7], v[2:3]
	v_mul_f64 v[6:7], v[213:214], s[18:19]
	scratch_store_b64 off, v[6:7], off offset:192 ; 8-byte Folded Spill
	v_fma_f64 v[6:7], v[207:208], s[16:17], v[6:7]
	v_add_f64 v[0:1], v[6:7], v[0:1]
	v_mul_f64 v[6:7], v[223:224], s[18:19]
	scratch_store_b64 off, v[6:7], off offset:200 ; 8-byte Folded Spill
	v_fma_f64 v[6:7], v[215:216], s[16:17], -v[6:7]
	s_delay_alu instid0(VALU_DEP_1) | instskip(SKIP_3) | instid1(VALU_DEP_1)
	v_add_f64 v[2:3], v[6:7], v[2:3]
	v_mul_f64 v[6:7], v[237:238], s[34:35]
	scratch_store_b64 off, v[6:7], off offset:208 ; 8-byte Folded Spill
	v_fma_f64 v[6:7], v[219:220], s[20:21], v[6:7]
	v_add_f64 v[0:1], v[6:7], v[0:1]
	v_mul_f64 v[6:7], v[239:240], s[34:35]
	scratch_store_b64 off, v[6:7], off offset:224 ; 8-byte Folded Spill
	v_fma_f64 v[6:7], v[229:230], s[20:21], -v[6:7]
	s_delay_alu instid0(VALU_DEP_1) | instskip(SKIP_3) | instid1(VALU_DEP_1)
	v_add_f64 v[2:3], v[6:7], v[2:3]
	v_mul_f64 v[6:7], v[243:244], s[26:27]
	scratch_store_b64 off, v[6:7], off offset:216 ; 8-byte Folded Spill
	v_fma_f64 v[6:7], v[225:226], s[22:23], v[6:7]
	v_add_f64 v[136:137], v[6:7], v[0:1]
	v_mul_f64 v[0:1], v[241:242], s[26:27]
	v_fma_f64 v[6:7], v[203:204], s[20:21], -v[180:181]
	scratch_store_b64 off, v[0:1], off offset:232 ; 8-byte Folded Spill
	v_fma_f64 v[0:1], v[233:234], s[22:23], -v[0:1]
	s_delay_alu instid0(VALU_DEP_1) | instskip(SKIP_2) | instid1(VALU_DEP_2)
	v_add_f64 v[138:139], v[0:1], v[2:3]
	v_fma_f64 v[0:1], v[253:254], s[2:3], v[30:31]
	v_mul_f64 v[2:3], v[201:202], s[34:35]
	v_add_f64 v[0:1], v[148:149], v[0:1]
	scratch_store_b64 off, v[2:3], off offset:240 ; 8-byte Folded Spill
	v_fma_f64 v[2:3], v[193:194], s[20:21], v[2:3]
	s_delay_alu instid0(VALU_DEP_1) | instskip(SKIP_1) | instid1(VALU_DEP_1)
	v_add_f64 v[0:1], v[2:3], v[0:1]
	v_fma_f64 v[2:3], v[26:27], s[2:3], -v[195:196]
	v_add_f64 v[2:3], v[150:151], v[2:3]
	s_delay_alu instid0(VALU_DEP_1) | instskip(SKIP_1) | instid1(VALU_DEP_1)
	v_add_f64 v[6:7], v[6:7], v[2:3]
	v_fma_f64 v[2:3], v[207:208], s[22:23], v[163:164]
	v_add_f64 v[0:1], v[2:3], v[0:1]
	v_mul_f64 v[2:3], v[223:224], s[24:25]
	s_delay_alu instid0(VALU_DEP_1) | instskip(NEXT) | instid1(VALU_DEP_1)
	v_fma_f64 v[8:9], v[215:216], s[22:23], -v[2:3]
	v_add_f64 v[6:7], v[8:9], v[6:7]
	v_fma_f64 v[8:9], v[219:220], s[16:17], v[182:183]
	s_delay_alu instid0(VALU_DEP_1) | instskip(SKIP_1) | instid1(VALU_DEP_1)
	v_add_f64 v[10:11], v[8:9], v[0:1]
	v_mul_f64 v[8:9], v[239:240], s[30:31]
	v_fma_f64 v[0:1], v[229:230], s[16:17], -v[8:9]
	s_delay_alu instid0(VALU_DEP_1) | instskip(SKIP_1) | instid1(VALU_DEP_1)
	v_add_f64 v[6:7], v[0:1], v[6:7]
	v_mul_f64 v[0:1], v[243:244], s[28:29]
	v_fma_f64 v[12:13], v[225:226], s[10:11], v[0:1]
	s_delay_alu instid0(VALU_DEP_1) | instskip(SKIP_2) | instid1(VALU_DEP_2)
	v_add_f64 v[144:145], v[12:13], v[10:11]
	v_fma_f64 v[10:11], v[233:234], s[10:11], -v[16:17]
	v_mul_f64 v[12:13], v[211:212], s[24:25]
	v_add_f64 v[146:147], v[10:11], v[6:7]
	v_fma_f64 v[6:7], v[253:254], s[16:17], v[152:153]
	v_fma_f64 v[10:11], v[193:194], s[22:23], v[251:252]
	s_delay_alu instid0(VALU_DEP_4) | instskip(NEXT) | instid1(VALU_DEP_3)
	v_fma_f64 v[14:15], v[203:204], s[22:23], -v[12:13]
	v_add_f64 v[6:7], v[148:149], v[6:7]
	s_delay_alu instid0(VALU_DEP_1) | instskip(SKIP_1) | instid1(VALU_DEP_1)
	v_add_f64 v[10:11], v[10:11], v[6:7]
	v_fma_f64 v[6:7], v[26:27], s[16:17], -v[154:155]
	v_add_f64 v[6:7], v[150:151], v[6:7]
	s_delay_alu instid0(VALU_DEP_1) | instskip(SKIP_1) | instid1(VALU_DEP_1)
	v_add_f64 v[14:15], v[14:15], v[6:7]
	v_mul_f64 v[6:7], v[213:214], s[36:37]
	v_fma_f64 v[18:19], v[207:208], s[2:3], v[6:7]
	s_delay_alu instid0(VALU_DEP_1) | instskip(SKIP_1) | instid1(VALU_DEP_1)
	v_add_f64 v[10:11], v[18:19], v[10:11]
	v_mul_f64 v[18:19], v[223:224], s[36:37]
	v_fma_f64 v[20:21], v[215:216], s[2:3], -v[18:19]
	s_delay_alu instid0(VALU_DEP_1) | instskip(SKIP_1) | instid1(VALU_DEP_1)
	v_add_f64 v[22:23], v[20:21], v[14:15]
	v_mul_f64 v[14:15], v[237:238], s[14:15]
	v_fma_f64 v[20:21], v[219:220], s[10:11], v[14:15]
	s_delay_alu instid0(VALU_DEP_1) | instskip(SKIP_1) | instid1(VALU_DEP_1)
	v_add_f64 v[140:141], v[20:21], v[10:11]
	v_mul_f64 v[20:21], v[239:240], s[14:15]
	v_fma_f64 v[10:11], v[229:230], s[10:11], -v[20:21]
	;; [unrolled: 8-line block ×3, first 2 shown]
	s_delay_alu instid0(VALU_DEP_1)
	v_add_f64 v[142:143], v[157:158], v[142:143]
	s_and_saveexec_b32 s33, s1
	s_cbranch_execz .LBB0_15
; %bb.14:
	v_mul_f64 v[157:158], v[26:27], s[22:23]
	s_clause 0x2
	scratch_store_b64 off, v[159:160], off offset:260
	scratch_store_b64 off, v[161:162], off offset:268
	;; [unrolled: 1-line block ×3, first 2 shown]
	v_mul_f64 v[161:162], v[26:27], s[20:21]
	s_mov_b32 s39, 0x3fe82f19
	s_mov_b32 s38, s34
	v_mov_b32_e32 v169, v205
	s_clause 0x4
	scratch_store_b32 off, v206, off offset:248
	scratch_store_b64 off, v[171:172], off offset:284
	scratch_store_b32 off, v227, off offset:252
	scratch_store_b64 off, v[173:174], off offset:292
	scratch_store_b32 off, v228, off offset:256
	v_dual_mov_b32 v228, v210 :: v_dual_mov_b32 v227, v209
	v_add_f64 v[170:171], v[150:151], v[199:200]
	v_dual_mov_b32 v200, v166 :: v_dual_mov_b32 v199, v165
	v_dual_mov_b32 v174, v231 :: v_dual_mov_b32 v231, v221
	scratch_store_b64 off, v[247:248], off offset:316 ; 8-byte Folded Spill
	v_dual_mov_b32 v248, v178 :: v_dual_mov_b32 v247, v177
	v_dual_mov_b32 v179, v176 :: v_dual_mov_b32 v178, v175
	v_mov_b32_e32 v175, v232
	v_dual_mov_b32 v177, v168 :: v_dual_mov_b32 v232, v222
	v_mul_f64 v[221:222], v[233:234], s[16:17]
	v_mov_b32_e32 v176, v167
	v_mul_f64 v[167:168], v[243:244], s[18:19]
	v_fma_f64 v[159:160], v[28:29], s[24:25], v[157:158]
	v_fma_f64 v[157:158], v[28:29], s[26:27], v[157:158]
	;; [unrolled: 1-line block ×4, first 2 shown]
	v_mul_f64 v[161:162], v[26:27], s[16:17]
	scratch_store_b64 off, v[170:171], off offset:300 ; 8-byte Folded Spill
	v_add_f64 v[170:171], v[148:149], v[197:198]
	v_add_f64 v[159:160], v[150:151], v[159:160]
	;; [unrolled: 1-line block ×5, first 2 shown]
	v_mul_f64 v[161:162], v[26:27], s[2:3]
	v_mul_f64 v[26:27], v[26:27], s[10:11]
	scratch_store_b64 off, v[170:171], off offset:308 ; 8-byte Folded Spill
	v_add_f64 v[170:171], v[150:151], v[28:29]
	v_mul_f64 v[28:29], v[201:202], s[28:29]
	v_add_f64 v[154:155], v[150:151], v[154:155]
	v_add_f64 v[161:162], v[195:196], v[161:162]
	;; [unrolled: 1-line block ×3, first 2 shown]
	v_mul_f64 v[26:27], v[4:5], s[26:27]
	v_mul_f64 v[4:5], v[4:5], s[34:35]
	;; [unrolled: 1-line block ×3, first 2 shown]
	v_add_f64 v[161:162], v[150:151], v[161:162]
	v_add_f64 v[150:151], v[150:151], v[24:25]
	s_delay_alu instid0(VALU_DEP_4) | instskip(SKIP_3) | instid1(VALU_DEP_4)
	v_fma_f64 v[209:210], v[253:254], s[20:21], -v[4:5]
	v_fma_f64 v[4:5], v[253:254], s[20:21], v[4:5]
	v_add_f64 v[30:31], v[195:196], -v[30:31]
	v_mul_f64 v[195:196], v[253:254], s[16:17]
	v_add_f64 v[209:210], v[148:149], v[209:210]
	s_delay_alu instid0(VALU_DEP_4)
	v_add_f64 v[172:173], v[148:149], v[4:5]
	v_mul_f64 v[4:5], v[203:204], s[10:11]
	v_add_f64 v[165:166], v[148:149], v[30:31]
	v_mul_f64 v[30:31], v[215:216], s[20:21]
	v_add_f64 v[152:153], v[195:196], -v[152:153]
	v_fma_f64 v[195:196], v[253:254], s[22:23], v[26:27]
	v_fma_f64 v[26:27], v[253:254], s[22:23], -v[26:27]
	v_mul_f64 v[253:254], v[253:254], s[10:11]
	v_fma_f64 v[24:25], v[211:212], s[14:15], v[4:5]
	v_fma_f64 v[4:5], v[211:212], s[28:29], v[4:5]
	v_add_f64 v[152:153], v[148:149], v[152:153]
	v_add_f64 v[195:196], v[148:149], v[195:196]
	v_add_f64 v[249:250], v[253:254], -v[249:250]
	v_add_f64 v[253:254], v[148:149], v[26:27]
	v_fma_f64 v[26:27], v[193:194], s[10:11], v[28:29]
	v_fma_f64 v[28:29], v[193:194], s[10:11], -v[28:29]
	v_add_f64 v[24:25], v[24:25], v[159:160]
	v_fma_f64 v[159:160], v[223:224], s[38:39], v[30:31]
	v_add_f64 v[4:5], v[4:5], v[157:158]
	v_fma_f64 v[30:31], v[223:224], s[34:35], v[30:31]
	v_fma_f64 v[157:158], v[225:226], s[16:17], -v[167:168]
	v_add_f64 v[148:149], v[148:149], v[249:250]
	v_add_f64 v[26:27], v[26:27], v[195:196]
	;; [unrolled: 1-line block ×4, first 2 shown]
	v_mul_f64 v[159:160], v[213:214], s[34:35]
	v_add_f64 v[4:5], v[30:31], v[4:5]
	s_delay_alu instid0(VALU_DEP_2)
	v_fma_f64 v[195:196], v[207:208], s[20:21], v[159:160]
	v_fma_f64 v[30:31], v[207:208], s[20:21], -v[159:160]
	scratch_load_b64 v[159:160], off, off offset:240 ; 8-byte Folded Reload
	v_add_f64 v[26:27], v[195:196], v[26:27]
	v_mul_f64 v[195:196], v[229:230], s[2:3]
	v_add_f64 v[28:29], v[30:31], v[28:29]
	s_delay_alu instid0(VALU_DEP_2) | instskip(SKIP_1) | instid1(VALU_DEP_2)
	v_fma_f64 v[249:250], v[239:240], s[12:13], v[195:196]
	v_fma_f64 v[30:31], v[239:240], s[36:37], v[195:196]
	v_add_f64 v[24:25], v[249:250], v[24:25]
	v_mul_f64 v[249:250], v[237:238], s[36:37]
	s_delay_alu instid0(VALU_DEP_3) | instskip(NEXT) | instid1(VALU_DEP_2)
	v_add_f64 v[4:5], v[30:31], v[4:5]
	v_fma_f64 v[30:31], v[219:220], s[2:3], -v[249:250]
	v_fma_f64 v[197:198], v[219:220], s[2:3], v[249:250]
	s_delay_alu instid0(VALU_DEP_2) | instskip(SKIP_1) | instid1(VALU_DEP_3)
	v_add_f64 v[28:29], v[30:31], v[28:29]
	v_fma_f64 v[30:31], v[241:242], s[18:19], v[221:222]
	v_add_f64 v[197:198], v[197:198], v[26:27]
	v_fma_f64 v[26:27], v[241:242], s[30:31], v[221:222]
	v_dual_mov_b32 v222, v232 :: v_dual_mov_b32 v221, v231
	v_dual_mov_b32 v231, v174 :: v_dual_mov_b32 v232, v175
	v_add_f64 v[28:29], v[157:158], v[28:29]
	v_mul_f64 v[157:158], v[193:194], s[20:21]
	v_add_f64 v[30:31], v[30:31], v[4:5]
	v_mul_f64 v[4:5], v[203:204], s[20:21]
	v_add_f64 v[26:27], v[26:27], v[24:25]
	v_fma_f64 v[24:25], v[225:226], s[16:17], v[167:168]
	v_mul_f64 v[167:168], v[229:230], s[16:17]
	s_delay_alu instid0(VALU_DEP_4) | instskip(NEXT) | instid1(VALU_DEP_3)
	v_add_f64 v[4:5], v[180:181], v[4:5]
	v_add_f64 v[24:25], v[24:25], v[197:198]
	s_delay_alu instid0(VALU_DEP_3) | instskip(SKIP_1) | instid1(VALU_DEP_4)
	v_add_f64 v[8:9], v[8:9], v[167:168]
	v_mul_f64 v[167:168], v[219:220], s[16:17]
	v_add_f64 v[4:5], v[4:5], v[161:162]
	v_mul_f64 v[161:162], v[233:234], s[10:11]
	s_delay_alu instid0(VALU_DEP_3) | instskip(SKIP_3) | instid1(VALU_DEP_4)
	v_add_f64 v[167:168], v[167:168], -v[182:183]
	s_waitcnt vmcnt(0)
	v_add_f64 v[157:158], v[157:158], -v[159:160]
	v_mul_f64 v[159:160], v[215:216], s[22:23]
	v_add_f64 v[16:17], v[16:17], v[161:162]
	s_delay_alu instid0(VALU_DEP_3) | instskip(NEXT) | instid1(VALU_DEP_3)
	v_add_f64 v[157:158], v[157:158], v[165:166]
	v_add_f64 v[2:3], v[2:3], v[159:160]
	v_mul_f64 v[159:160], v[207:208], s[22:23]
	s_delay_alu instid0(VALU_DEP_2) | instskip(NEXT) | instid1(VALU_DEP_2)
	v_add_f64 v[2:3], v[2:3], v[4:5]
	v_add_f64 v[159:160], v[159:160], -v[163:164]
	s_delay_alu instid0(VALU_DEP_2) | instskip(NEXT) | instid1(VALU_DEP_2)
	v_add_f64 v[2:3], v[8:9], v[2:3]
	v_add_f64 v[4:5], v[159:160], v[157:158]
	v_mul_f64 v[157:158], v[225:226], s[10:11]
	v_mul_f64 v[8:9], v[193:194], s[22:23]
	s_delay_alu instid0(VALU_DEP_4) | instskip(NEXT) | instid1(VALU_DEP_4)
	v_add_f64 v[2:3], v[16:17], v[2:3]
	v_add_f64 v[4:5], v[167:168], v[4:5]
	s_delay_alu instid0(VALU_DEP_4) | instskip(NEXT) | instid1(VALU_DEP_4)
	v_add_f64 v[0:1], v[157:158], -v[0:1]
	v_add_f64 v[8:9], v[8:9], -v[251:252]
	v_mul_f64 v[16:17], v[207:208], s[2:3]
	v_mul_f64 v[157:158], v[233:234], s[2:3]
	s_delay_alu instid0(VALU_DEP_4) | instskip(SKIP_1) | instid1(VALU_DEP_4)
	v_add_f64 v[0:1], v[0:1], v[4:5]
	v_mul_f64 v[4:5], v[203:204], s[22:23]
	v_add_f64 v[6:7], v[16:17], -v[6:7]
	v_mul_f64 v[16:17], v[229:230], s[10:11]
	v_add_f64 v[8:9], v[8:9], v[152:153]
	s_delay_alu instid0(VALU_DEP_4) | instskip(SKIP_1) | instid1(VALU_DEP_4)
	v_add_f64 v[4:5], v[12:13], v[4:5]
	v_mul_f64 v[12:13], v[215:216], s[2:3]
	v_add_f64 v[16:17], v[20:21], v[16:17]
	s_delay_alu instid0(VALU_DEP_4)
	v_add_f64 v[6:7], v[6:7], v[8:9]
	v_mul_f64 v[8:9], v[225:226], s[20:21]
	v_add_f64 v[4:5], v[4:5], v[154:155]
	v_add_f64 v[12:13], v[18:19], v[12:13]
	v_mul_f64 v[18:19], v[219:220], s[10:11]
	v_mul_f64 v[154:155], v[243:244], s[36:37]
	v_add_f64 v[8:9], v[8:9], -v[10:11]
	s_delay_alu instid0(VALU_DEP_4) | instskip(NEXT) | instid1(VALU_DEP_4)
	v_add_f64 v[4:5], v[12:13], v[4:5]
	v_add_f64 v[14:15], v[18:19], -v[14:15]
	v_mul_f64 v[18:19], v[233:234], s[20:21]
	v_mul_f64 v[12:13], v[203:204], s[16:17]
	s_delay_alu instid0(VALU_DEP_4) | instskip(NEXT) | instid1(VALU_DEP_4)
	v_add_f64 v[4:5], v[16:17], v[4:5]
	v_add_f64 v[10:11], v[14:15], v[6:7]
	s_delay_alu instid0(VALU_DEP_4) | instskip(SKIP_2) | instid1(VALU_DEP_3)
	v_add_f64 v[18:19], v[22:23], v[18:19]
	v_mul_f64 v[16:17], v[215:216], s[10:11]
	v_mul_f64 v[14:15], v[201:202], s[30:31]
	v_add_f64 v[6:7], v[18:19], v[4:5]
	v_add_f64 v[4:5], v[8:9], v[10:11]
	v_fma_f64 v[8:9], v[211:212], s[30:31], v[12:13]
	v_fma_f64 v[18:19], v[223:224], s[14:15], v[16:17]
	v_fma_f64 v[10:11], v[193:194], s[16:17], -v[14:15]
	v_fma_f64 v[12:13], v[211:212], s[18:19], v[12:13]
	v_fma_f64 v[16:17], v[223:224], s[28:29], v[16:17]
	;; [unrolled: 1-line block ×3, first 2 shown]
	v_add_f64 v[8:9], v[8:9], v[170:171]
	v_add_f64 v[10:11], v[10:11], v[209:210]
	;; [unrolled: 1-line block ×3, first 2 shown]
	v_dual_mov_b32 v209, v227 :: v_dual_mov_b32 v210, v228
	v_add_f64 v[14:15], v[14:15], v[172:173]
	s_clause 0x2
	scratch_load_b32 v228, off, off offset:256
	scratch_load_b32 v227, off, off offset:252
	;; [unrolled: 1-line block ×3, first 2 shown]
	v_mov_b32_e32 v205, v169
	v_add_f64 v[8:9], v[18:19], v[8:9]
	v_mul_f64 v[18:19], v[213:214], s[14:15]
	v_add_f64 v[12:13], v[16:17], v[12:13]
	s_delay_alu instid0(VALU_DEP_2) | instskip(SKIP_2) | instid1(VALU_DEP_3)
	v_fma_f64 v[20:21], v[207:208], s[10:11], -v[18:19]
	v_fma_f64 v[16:17], v[207:208], s[10:11], v[18:19]
	v_fma_f64 v[18:19], v[225:226], s[2:3], v[154:155]
	v_add_f64 v[10:11], v[20:21], v[10:11]
	v_mul_f64 v[20:21], v[229:230], s[22:23]
	s_delay_alu instid0(VALU_DEP_4) | instskip(NEXT) | instid1(VALU_DEP_2)
	v_add_f64 v[14:15], v[16:17], v[14:15]
	v_fma_f64 v[22:23], v[239:240], s[26:27], v[20:21]
	v_fma_f64 v[20:21], v[239:240], s[24:25], v[20:21]
	s_delay_alu instid0(VALU_DEP_2) | instskip(SKIP_1) | instid1(VALU_DEP_3)
	v_add_f64 v[8:9], v[22:23], v[8:9]
	v_mul_f64 v[22:23], v[237:238], s[26:27]
	v_add_f64 v[12:13], v[20:21], v[12:13]
	s_delay_alu instid0(VALU_DEP_2)
	v_fma_f64 v[152:153], v[219:220], s[22:23], -v[22:23]
	v_fma_f64 v[16:17], v[219:220], s[22:23], v[22:23]
	scratch_load_b64 v[22:23], off, off offset:200 ; 8-byte Folded Reload
	v_add_f64 v[152:153], v[152:153], v[10:11]
	v_fma_f64 v[10:11], v[241:242], s[36:37], v[157:158]
	v_add_f64 v[16:17], v[16:17], v[14:15]
	s_delay_alu instid0(VALU_DEP_2)
	v_add_f64 v[10:11], v[10:11], v[8:9]
	v_fma_f64 v[8:9], v[225:226], s[2:3], -v[154:155]
	scratch_load_b64 v[154:155], off, off offset:224 ; 8-byte Folded Reload
	v_add_f64 v[8:9], v[8:9], v[152:153]
	v_fma_f64 v[152:153], v[241:242], s[12:13], v[157:158]
	scratch_load_b64 v[157:158], off, off offset:208 ; 8-byte Folded Reload
	v_add_f64 v[14:15], v[152:153], v[12:13]
	v_add_f64 v[12:13], v[18:19], v[16:17]
	s_clause 0x2
	scratch_load_b64 v[18:19], off, off offset:184
	scratch_load_b64 v[152:153], off, off offset:192
	;; [unrolled: 1-line block ×3, first 2 shown]
	v_mul_f64 v[16:17], v[203:204], s[2:3]
	s_waitcnt vmcnt(2)
	s_delay_alu instid0(VALU_DEP_1) | instskip(SKIP_1) | instid1(VALU_DEP_2)
	v_add_f64 v[16:17], v[18:19], v[16:17]
	v_mul_f64 v[18:19], v[193:194], s[2:3]
	v_add_f64 v[16:17], v[16:17], v[150:151]
	s_waitcnt vmcnt(0)
	s_delay_alu instid0(VALU_DEP_2)
	v_add_f64 v[18:19], v[18:19], -v[20:21]
	v_mul_f64 v[20:21], v[215:216], s[16:17]
	scratch_load_b64 v[150:151], off, off offset:232 ; 8-byte Folded Reload
	v_add_f64 v[18:19], v[18:19], v[148:149]
	v_add_f64 v[20:21], v[22:23], v[20:21]
	v_mul_f64 v[22:23], v[207:208], s[16:17]
	v_mul_f64 v[148:149], v[233:234], s[22:23]
	s_delay_alu instid0(VALU_DEP_3) | instskip(NEXT) | instid1(VALU_DEP_3)
	v_add_f64 v[16:17], v[20:21], v[16:17]
	v_add_f64 v[22:23], v[22:23], -v[152:153]
	v_mul_f64 v[152:153], v[229:230], s[20:21]
	v_mul_f64 v[20:21], v[225:226], s[22:23]
	s_delay_alu instid0(VALU_DEP_3) | instskip(SKIP_3) | instid1(VALU_DEP_2)
	v_add_f64 v[18:19], v[22:23], v[18:19]
	scratch_load_b64 v[22:23], off, off offset:216 ; 8-byte Folded Reload
	v_add_f64 v[152:153], v[154:155], v[152:153]
	v_mul_f64 v[154:155], v[219:220], s[20:21]
	v_add_f64 v[16:17], v[152:153], v[16:17]
	s_delay_alu instid0(VALU_DEP_2) | instskip(SKIP_4) | instid1(VALU_DEP_3)
	v_add_f64 v[154:155], v[154:155], -v[157:158]
	s_waitcnt vmcnt(1)
	v_add_f64 v[148:149], v[150:151], v[148:149]
	s_waitcnt vmcnt(0)
	v_add_f64 v[20:21], v[20:21], -v[22:23]
	v_add_f64 v[22:23], v[154:155], v[18:19]
	s_delay_alu instid0(VALU_DEP_3) | instskip(NEXT) | instid1(VALU_DEP_2)
	v_add_f64 v[18:19], v[148:149], v[16:17]
	v_add_f64 v[16:17], v[20:21], v[22:23]
	s_clause 0x2
	scratch_load_b64 v[20:21], off, off offset:276
	scratch_load_b64 v[22:23], off, off offset:300
	;; [unrolled: 1-line block ×3, first 2 shown]
	s_waitcnt vmcnt(1)
	v_add_f64 v[20:21], v[22:23], v[20:21]
	scratch_load_b64 v[22:23], off, off offset:308 ; 8-byte Folded Reload
	s_waitcnt vmcnt(1)
	v_add_f64 v[20:21], v[20:21], v[148:149]
	scratch_load_b64 v[148:149], off, off offset:284 ; 8-byte Folded Reload
	v_add_f64 v[20:21], v[20:21], v[189:190]
	s_delay_alu instid0(VALU_DEP_1) | instskip(SKIP_2) | instid1(VALU_DEP_1)
	v_add_f64 v[20:21], v[20:21], v[64:65]
	scratch_load_b64 v[64:65], off, off offset:316 ; 8-byte Folded Reload
	v_add_f64 v[20:21], v[20:21], v[245:246]
	v_add_f64 v[20:21], v[20:21], v[187:188]
	s_delay_alu instid0(VALU_DEP_1) | instskip(SKIP_3) | instid1(VALU_DEP_1)
	v_add_f64 v[20:21], v[20:21], v[178:179]
	s_waitcnt vmcnt(2)
	v_add_f64 v[22:23], v[22:23], v[176:177]
	s_waitcnt vmcnt(1)
	v_add_f64 v[22:23], v[22:23], v[148:149]
	s_delay_alu instid0(VALU_DEP_1) | instskip(NEXT) | instid1(VALU_DEP_1)
	v_add_f64 v[22:23], v[22:23], v[185:186]
	v_add_f64 v[22:23], v[22:23], v[191:192]
	s_delay_alu instid0(VALU_DEP_1) | instskip(NEXT) | instid1(VALU_DEP_1)
	v_add_f64 v[22:23], v[22:23], v[66:67]
	;; [unrolled: 3-line block ×3, first 2 shown]
	v_add_f64 v[148:149], v[22:23], v[199:200]
	scratch_load_b64 v[22:23], off, off offset:260 ; 8-byte Folded Reload
	s_waitcnt vmcnt(1)
	v_add_f64 v[20:21], v[20:21], v[64:65]
	s_waitcnt vmcnt(0)
	s_delay_alu instid0(VALU_DEP_1)
	v_add_f64 v[22:23], v[20:21], v[22:23]
	scratch_load_b64 v[20:21], off, off offset:268 ; 8-byte Folded Reload
	s_waitcnt vmcnt(0)
	v_add_f64 v[20:21], v[148:149], v[20:21]
	ds_store_b128 v255, v[0:3] offset:2880
	ds_store_b128 v255, v[140:143] offset:11520
	;; [unrolled: 1-line block ×9, first 2 shown]
	ds_store_b128 v255, v[20:23]
	ds_store_b128 v255, v[136:139] offset:14400
.LBB0_15:
	s_or_b32 exec_lo, exec_lo, s33
	v_add_co_u32 v26, s2, 0x5000, v184
	s_delay_alu instid0(VALU_DEP_1) | instskip(SKIP_1) | instid1(VALU_DEP_1)
	v_add_co_ci_u32_e64 v27, s2, 0, v156, s2
	v_add_co_u32 v22, s2, 0x6000, v184
	v_add_co_ci_u32_e64 v23, s2, 0, v156, s2
	v_add_co_u32 v0, s2, 0x3de0, v184
	s_delay_alu instid0(VALU_DEP_1)
	v_add_co_ci_u32_e64 v1, s2, 0, v156, s2
	v_add_co_u32 v30, s2, 0x7000, v184
	s_waitcnt lgkmcnt(0)
	s_waitcnt_vscnt null, 0x0
	s_barrier
	buffer_gl0_inv
	s_clause 0x4
	global_load_b128 v[2:5], v[217:218], off offset:3552
	global_load_b128 v[6:9], v[26:27], off offset:3280
	;; [unrolled: 1-line block ×5, first 2 shown]
	v_add_co_ci_u32_e64 v31, s2, 0, v156, s2
	s_clause 0x2
	global_load_b128 v[22:25], v[22:23], off offset:2704
	global_load_b128 v[26:29], v[26:27], off offset:640
	;; [unrolled: 1-line block ×3, first 2 shown]
	ds_load_b128 v[152:155], v255
	ds_load_b128 v[156:159], v255 offset:7920
	ds_load_b128 v[160:163], v255 offset:1760
	ds_load_b128 v[164:167], v255 offset:9680
	ds_load_b128 v[168:171], v255 offset:3520
	ds_load_b128 v[172:175], v255 offset:11440
	ds_load_b128 v[176:179], v255 offset:5280
	ds_load_b128 v[180:183], v255 offset:13200
	s_waitcnt vmcnt(7) lgkmcnt(7)
	v_mul_f64 v[30:31], v[154:155], v[4:5]
	v_mul_f64 v[4:5], v[152:153], v[4:5]
	s_waitcnt vmcnt(6) lgkmcnt(6)
	v_mul_f64 v[184:185], v[158:159], v[8:9]
	v_mul_f64 v[8:9], v[156:157], v[8:9]
	;; [unrolled: 3-line block ×3, first 2 shown]
	s_waitcnt lgkmcnt(4)
	v_mul_f64 v[188:189], v[166:167], v[12:13]
	v_mul_f64 v[190:191], v[164:165], v[12:13]
	s_waitcnt vmcnt(3) lgkmcnt(3)
	v_mul_f64 v[192:193], v[170:171], v[20:21]
	v_mul_f64 v[20:21], v[168:169], v[20:21]
	s_waitcnt vmcnt(2) lgkmcnt(2)
	;; [unrolled: 3-line block ×4, first 2 shown]
	v_mul_f64 v[200:201], v[182:183], v[150:151]
	v_mul_f64 v[202:203], v[180:181], v[150:151]
	v_fma_f64 v[28:29], v[152:153], v[2:3], -v[30:31]
	v_fma_f64 v[30:31], v[154:155], v[2:3], v[4:5]
	v_fma_f64 v[2:3], v[156:157], v[6:7], -v[184:185]
	v_fma_f64 v[4:5], v[158:159], v[6:7], v[8:9]
	;; [unrolled: 2-line block ×8, first 2 shown]
	ds_store_b128 v255, v[28:31]
	ds_store_b128 v255, v[6:9] offset:1760
	ds_store_b128 v255, v[2:5] offset:7920
	;; [unrolled: 1-line block ×7, first 2 shown]
	s_and_saveexec_b32 s3, vcc_lo
	s_cbranch_execz .LBB0_17
; %bb.16:
	v_add_co_u32 v2, s2, 0x1000, v0
	s_delay_alu instid0(VALU_DEP_1) | instskip(SKIP_1) | instid1(VALU_DEP_1)
	v_add_co_ci_u32_e64 v3, s2, 0, v1, s2
	v_add_co_u32 v4, s2, 0x3000, v0
	v_add_co_ci_u32_e64 v5, s2, 0, v1, s2
	s_clause 0x1
	global_load_b128 v[0:3], v[2:3], off offset:2944
	global_load_b128 v[4:7], v[4:5], off offset:2672
	ds_load_b128 v[8:11], v255 offset:7040
	ds_load_b128 v[12:15], v255 offset:14960
	s_waitcnt vmcnt(1) lgkmcnt(1)
	v_mul_f64 v[16:17], v[10:11], v[2:3]
	v_mul_f64 v[2:3], v[8:9], v[2:3]
	s_waitcnt vmcnt(0) lgkmcnt(0)
	v_mul_f64 v[18:19], v[14:15], v[6:7]
	v_mul_f64 v[20:21], v[12:13], v[6:7]
	s_delay_alu instid0(VALU_DEP_4) | instskip(NEXT) | instid1(VALU_DEP_4)
	v_fma_f64 v[6:7], v[8:9], v[0:1], -v[16:17]
	v_fma_f64 v[8:9], v[10:11], v[0:1], v[2:3]
	s_delay_alu instid0(VALU_DEP_4) | instskip(NEXT) | instid1(VALU_DEP_4)
	v_fma_f64 v[0:1], v[12:13], v[4:5], -v[18:19]
	v_fma_f64 v[2:3], v[14:15], v[4:5], v[20:21]
	ds_store_b128 v255, v[6:9] offset:7040
	ds_store_b128 v255, v[0:3] offset:14960
.LBB0_17:
	s_or_b32 exec_lo, exec_lo, s3
	s_waitcnt lgkmcnt(0)
	s_barrier
	buffer_gl0_inv
	ds_load_b128 v[152:155], v255
	ds_load_b128 v[156:159], v255 offset:1760
	ds_load_b128 v[176:179], v255 offset:7920
	ds_load_b128 v[172:175], v255 offset:9680
	ds_load_b128 v[160:163], v255 offset:3520
	ds_load_b128 v[148:151], v255 offset:5280
	ds_load_b128 v[168:171], v255 offset:11440
	ds_load_b128 v[164:167], v255 offset:13200
	scratch_load_b32 v0, off, off offset:128 ; 4-byte Folded Reload
	s_waitcnt vmcnt(0)
	v_add_nc_u32_e32 v0, 0x2940, v0
	s_and_saveexec_b32 s2, vcc_lo
	s_cbranch_execz .LBB0_19
; %bb.18:
	ds_load_b128 v[140:143], v255 offset:7040
	ds_load_b128 v[144:147], v255 offset:14960
.LBB0_19:
	s_or_b32 exec_lo, exec_lo, s2
	s_waitcnt lgkmcnt(5)
	v_add_f64 v[1:2], v[152:153], -v[176:177]
	v_add_f64 v[3:4], v[154:155], -v[178:179]
	s_waitcnt lgkmcnt(4)
	v_add_f64 v[5:6], v[156:157], -v[172:173]
	v_add_f64 v[7:8], v[158:159], -v[174:175]
	s_waitcnt lgkmcnt(1)
	v_add_f64 v[9:10], v[160:161], -v[168:169]
	v_add_f64 v[11:12], v[162:163], -v[170:171]
	s_waitcnt lgkmcnt(0)
	v_add_f64 v[13:14], v[148:149], -v[164:165]
	v_add_f64 v[15:16], v[150:151], -v[166:167]
	v_add_f64 v[144:145], v[140:141], -v[144:145]
	v_add_f64 v[146:147], v[142:143], -v[146:147]
	s_barrier
	buffer_gl0_inv
	v_fma_f64 v[17:18], v[152:153], 2.0, -v[1:2]
	v_fma_f64 v[19:20], v[154:155], 2.0, -v[3:4]
	;; [unrolled: 1-line block ×8, first 2 shown]
	ds_store_b128 v228, v[17:20]
	ds_store_b128 v228, v[1:4] offset:16
	ds_store_b128 v231, v[21:24]
	ds_store_b128 v231, v[5:8] offset:16
	;; [unrolled: 2-line block ×4, first 2 shown]
	s_and_saveexec_b32 s2, vcc_lo
	s_cbranch_execz .LBB0_21
; %bb.20:
	v_fma_f64 v[2:3], v[142:143], 2.0, -v[146:147]
	v_fma_f64 v[0:1], v[140:141], 2.0, -v[144:145]
	ds_store_b128 v222, v[0:3]
	ds_store_b128 v222, v[144:147] offset:16
.LBB0_21:
	s_or_b32 exec_lo, exec_lo, s2
	s_waitcnt lgkmcnt(0)
	s_barrier
	buffer_gl0_inv
	ds_load_b128 v[0:3], v255 offset:5280
	ds_load_b128 v[4:7], v255 offset:10560
	;; [unrolled: 1-line block ×7, first 2 shown]
	s_mov_b32 s2, 0xe8584caa
	s_mov_b32 s3, 0xbfebb67a
	;; [unrolled: 1-line block ×4, first 2 shown]
	s_waitcnt lgkmcnt(6)
	v_mul_f64 v[28:29], v[38:39], v[2:3]
	v_mul_f64 v[140:141], v[38:39], v[0:1]
	s_waitcnt lgkmcnt(4)
	v_mul_f64 v[148:149], v[38:39], v[10:11]
	s_waitcnt lgkmcnt(3)
	v_mul_f64 v[150:151], v[34:35], v[14:15]
	v_mul_f64 v[152:153], v[38:39], v[8:9]
	;; [unrolled: 1-line block ×3, first 2 shown]
	s_waitcnt lgkmcnt(2)
	v_mul_f64 v[156:157], v[38:39], v[18:19]
	s_waitcnt lgkmcnt(1)
	v_mul_f64 v[158:159], v[34:35], v[22:23]
	v_mul_f64 v[38:39], v[38:39], v[16:17]
	;; [unrolled: 1-line block ×5, first 2 shown]
	v_fma_f64 v[28:29], v[36:37], v[0:1], v[28:29]
	v_fma_f64 v[140:141], v[36:37], v[2:3], -v[140:141]
	v_fma_f64 v[8:9], v[36:37], v[8:9], v[148:149]
	v_fma_f64 v[12:13], v[32:33], v[12:13], v[150:151]
	v_fma_f64 v[10:11], v[36:37], v[10:11], -v[152:153]
	v_fma_f64 v[14:15], v[32:33], v[14:15], -v[154:155]
	v_fma_f64 v[16:17], v[36:37], v[16:17], v[156:157]
	v_fma_f64 v[20:21], v[32:33], v[20:21], v[158:159]
	v_fma_f64 v[18:19], v[36:37], v[18:19], -v[38:39]
	v_fma_f64 v[30:31], v[32:33], v[4:5], v[30:31]
	v_fma_f64 v[142:143], v[32:33], v[6:7], -v[142:143]
	ds_load_b128 v[0:3], v255
	ds_load_b128 v[4:7], v255 offset:1760
	s_waitcnt lgkmcnt(0)
	s_barrier
	buffer_gl0_inv
	v_fma_f64 v[22:23], v[32:33], v[22:23], -v[34:35]
	v_add_f64 v[152:153], v[0:1], v[28:29]
	v_add_f64 v[156:157], v[4:5], v[8:9]
	;; [unrolled: 1-line block ×3, first 2 shown]
	v_add_f64 v[166:167], v[8:9], -v[12:13]
	v_add_f64 v[164:165], v[10:11], -v[14:15]
	v_add_f64 v[160:161], v[24:25], v[16:17]
	v_add_f64 v[148:149], v[16:17], v[20:21]
	v_add_f64 v[170:171], v[16:17], -v[20:21]
	v_add_f64 v[32:33], v[28:29], v[30:31]
	v_add_f64 v[34:35], v[140:141], v[142:143]
	;; [unrolled: 3-line block ×3, first 2 shown]
	v_add_f64 v[158:159], v[6:7], v[10:11]
	v_add_f64 v[28:29], v[28:29], -v[30:31]
	v_add_f64 v[150:151], v[18:19], v[22:23]
	v_add_f64 v[162:163], v[26:27], v[18:19]
	v_add_f64 v[168:169], v[18:19], -v[22:23]
	v_fma_f64 v[36:37], v[36:37], -0.5, v[4:5]
	v_add_f64 v[4:5], v[156:157], v[12:13]
	v_add_f64 v[8:9], v[160:161], v[20:21]
	v_fma_f64 v[148:149], v[148:149], -0.5, v[24:25]
	v_fma_f64 v[32:33], v[32:33], -0.5, v[0:1]
	;; [unrolled: 1-line block ×3, first 2 shown]
	v_add_f64 v[0:1], v[152:153], v[30:31]
	v_add_f64 v[2:3], v[140:141], v[142:143]
	v_fma_f64 v[38:39], v[38:39], -0.5, v[6:7]
	v_add_f64 v[6:7], v[158:159], v[14:15]
	v_fma_f64 v[150:151], v[150:151], -0.5, v[26:27]
	v_add_f64 v[10:11], v[162:163], v[22:23]
	v_fma_f64 v[20:21], v[164:165], s[2:3], v[36:37]
	v_fma_f64 v[24:25], v[164:165], s[10:11], v[36:37]
	scratch_load_b32 v36, off, off offset:152 ; 4-byte Folded Reload
	v_fma_f64 v[12:13], v[154:155], s[2:3], v[32:33]
	v_fma_f64 v[14:15], v[28:29], s[10:11], v[34:35]
	;; [unrolled: 1-line block ×10, first 2 shown]
	s_waitcnt vmcnt(0)
	ds_store_b128 v36, v[0:3]
	ds_store_b128 v36, v[12:15] offset:32
	ds_store_b128 v36, v[16:19] offset:64
	scratch_load_b32 v0, off, off offset:148 ; 4-byte Folded Reload
	s_waitcnt vmcnt(0)
	ds_store_b128 v0, v[4:7]
	ds_store_b128 v0, v[20:23] offset:32
	ds_store_b128 v0, v[24:27] offset:64
	scratch_load_b32 v0, off, off offset:144 ; 4-byte Folded Reload
	s_waitcnt vmcnt(0)
	ds_store_b128 v0, v[8:11]
	ds_store_b128 v0, v[28:31] offset:32
	ds_store_b128 v0, v[32:35] offset:64
	s_waitcnt lgkmcnt(0)
	s_barrier
	buffer_gl0_inv
	ds_load_b128 v[0:3], v255 offset:5280
	ds_load_b128 v[4:7], v255 offset:10560
	;; [unrolled: 1-line block ×7, first 2 shown]
	s_waitcnt lgkmcnt(6)
	v_mul_f64 v[28:29], v[54:55], v[2:3]
	s_waitcnt lgkmcnt(5)
	v_mul_f64 v[30:31], v[42:43], v[6:7]
	v_mul_f64 v[34:35], v[42:43], v[4:5]
	s_waitcnt lgkmcnt(4)
	v_mul_f64 v[36:37], v[50:51], v[10:11]
	s_waitcnt lgkmcnt(3)
	v_mul_f64 v[38:39], v[46:47], v[14:15]
	v_mul_f64 v[42:43], v[50:51], v[8:9]
	s_waitcnt lgkmcnt(2)
	v_mul_f64 v[50:51], v[62:63], v[18:19]
	v_mul_f64 v[32:33], v[54:55], v[0:1]
	;; [unrolled: 1-line block ×3, first 2 shown]
	s_waitcnt lgkmcnt(1)
	v_mul_f64 v[54:55], v[58:59], v[22:23]
	v_mul_f64 v[62:63], v[62:63], v[16:17]
	;; [unrolled: 1-line block ×3, first 2 shown]
	v_fma_f64 v[28:29], v[52:53], v[0:1], v[28:29]
	v_fma_f64 v[30:31], v[40:41], v[4:5], v[30:31]
	v_fma_f64 v[34:35], v[40:41], v[6:7], -v[34:35]
	v_fma_f64 v[8:9], v[48:49], v[8:9], v[36:37]
	v_fma_f64 v[12:13], v[44:45], v[12:13], v[38:39]
	v_fma_f64 v[10:11], v[48:49], v[10:11], -v[42:43]
	v_fma_f64 v[16:17], v[60:61], v[16:17], v[50:51]
	v_fma_f64 v[32:33], v[52:53], v[2:3], -v[32:33]
	ds_load_b128 v[0:3], v255
	ds_load_b128 v[4:7], v255 offset:1760
	v_fma_f64 v[20:21], v[56:57], v[20:21], v[54:55]
	v_fma_f64 v[14:15], v[44:45], v[14:15], -v[46:47]
	v_fma_f64 v[22:23], v[56:57], v[22:23], -v[58:59]
	;; [unrolled: 1-line block ×3, first 2 shown]
	s_waitcnt lgkmcnt(0)
	s_barrier
	buffer_gl0_inv
	v_add_f64 v[48:49], v[0:1], v[28:29]
	v_add_f64 v[36:37], v[28:29], v[30:31]
	v_add_f64 v[28:29], v[28:29], -v[30:31]
	v_add_f64 v[52:53], v[4:5], v[8:9]
	v_add_f64 v[40:41], v[8:9], v[12:13]
	;; [unrolled: 1-line block ×5, first 2 shown]
	v_add_f64 v[50:51], v[32:33], -v[34:35]
	v_add_f64 v[44:45], v[16:17], v[20:21]
	v_add_f64 v[150:151], v[16:17], -v[20:21]
	v_add_f64 v[32:33], v[2:3], v[32:33]
	v_add_f64 v[42:43], v[10:11], v[14:15]
	v_add_f64 v[60:61], v[10:11], -v[14:15]
	v_add_f64 v[140:141], v[8:9], -v[12:13]
	v_add_f64 v[46:47], v[18:19], v[22:23]
	v_add_f64 v[58:59], v[26:27], v[18:19]
	v_add_f64 v[148:149], v[18:19], -v[22:23]
	v_fma_f64 v[36:37], v[36:37], -0.5, v[0:1]
	v_add_f64 v[0:1], v[48:49], v[30:31]
	v_fma_f64 v[62:63], v[40:41], -0.5, v[4:5]
	v_add_f64 v[4:5], v[52:53], v[12:13]
	v_add_f64 v[40:41], v[56:57], v[20:21]
	scratch_load_b32 v20, off, off offset:140 ; 4-byte Folded Reload
	v_fma_f64 v[38:39], v[38:39], -0.5, v[2:3]
	v_fma_f64 v[24:25], v[44:45], -0.5, v[24:25]
	v_add_f64 v[2:3], v[32:33], v[34:35]
	v_fma_f64 v[142:143], v[42:43], -0.5, v[6:7]
	v_add_f64 v[6:7], v[54:55], v[14:15]
	;; [unrolled: 2-line block ×3, first 2 shown]
	v_fma_f64 v[8:9], v[50:51], s[2:3], v[36:37]
	v_fma_f64 v[12:13], v[50:51], s[10:11], v[36:37]
	;; [unrolled: 1-line block ×10, first 2 shown]
	s_waitcnt vmcnt(0)
	ds_store_b128 v20, v[0:3]
	ds_store_b128 v20, v[8:11] offset:96
	ds_store_b128 v20, v[12:15] offset:192
	scratch_load_b32 v0, off, off offset:136 ; 4-byte Folded Reload
	v_fma_f64 v[46:47], v[150:151], s[10:11], v[26:27]
	v_fma_f64 v[50:51], v[150:151], s[2:3], v[26:27]
	s_waitcnt vmcnt(0)
	ds_store_b128 v0, v[4:7]
	ds_store_b128 v0, v[16:19] offset:96
	ds_store_b128 v0, v[32:35] offset:192
	scratch_load_b32 v0, off, off offset:132 ; 4-byte Folded Reload
	s_waitcnt vmcnt(0)
	ds_store_b128 v0, v[40:43]
	ds_store_b128 v0, v[44:47] offset:96
	ds_store_b128 v0, v[48:51] offset:192
	s_waitcnt lgkmcnt(0)
	s_barrier
	buffer_gl0_inv
	ds_load_b128 v[36:39], v255
	ds_load_b128 v[140:143], v255 offset:3168
	ds_load_b128 v[52:55], v255 offset:6336
	;; [unrolled: 1-line block ×4, first 2 shown]
	s_and_saveexec_b32 s2, s0
	s_cbranch_execz .LBB0_23
; %bb.22:
	ds_load_b128 v[32:35], v255 offset:1760
	ds_load_b128 v[40:43], v255 offset:4928
	;; [unrolled: 1-line block ×5, first 2 shown]
.LBB0_23:
	s_or_b32 exec_lo, exec_lo, s2
	s_waitcnt lgkmcnt(3)
	v_mul_f64 v[0:1], v[82:83], v[142:143]
	s_waitcnt lgkmcnt(2)
	v_mul_f64 v[2:3], v[74:75], v[54:55]
	;; [unrolled: 2-line block ×4, first 2 shown]
	v_mul_f64 v[6:7], v[82:83], v[140:141]
	v_mul_f64 v[10:11], v[74:75], v[52:53]
	;; [unrolled: 1-line block ×12, first 2 shown]
	s_mov_b32 s2, 0x134454ff
	s_mov_b32 s3, 0xbfee6f0e
	;; [unrolled: 1-line block ×4, first 2 shown]
	s_barrier
	buffer_gl0_inv
	v_fma_f64 v[0:1], v[80:81], v[140:141], v[0:1]
	v_fma_f64 v[2:3], v[72:73], v[52:53], v[2:3]
	v_fma_f64 v[4:5], v[68:69], v[56:57], v[4:5]
	v_fma_f64 v[8:9], v[76:77], v[60:61], v[8:9]
	v_fma_f64 v[6:7], v[80:81], v[142:143], -v[6:7]
	v_fma_f64 v[10:11], v[72:73], v[54:55], -v[10:11]
	;; [unrolled: 1-line block ×4, first 2 shown]
	v_fma_f64 v[16:17], v[96:97], v[40:41], v[16:17]
	v_fma_f64 v[18:19], v[92:93], v[44:45], v[18:19]
	;; [unrolled: 1-line block ×3, first 2 shown]
	v_fma_f64 v[22:23], v[96:97], v[42:43], -v[22:23]
	v_fma_f64 v[24:25], v[84:85], v[144:145], v[24:25]
	v_fma_f64 v[26:27], v[92:93], v[46:47], -v[26:27]
	v_fma_f64 v[28:29], v[88:89], v[50:51], -v[28:29]
	v_fma_f64 v[30:31], v[84:85], v[146:147], -v[30:31]
	v_add_f64 v[56:57], v[36:37], v[0:1]
	v_add_f64 v[40:41], v[2:3], v[4:5]
	;; [unrolled: 1-line block ×4, first 2 shown]
	v_add_f64 v[72:73], v[0:1], -v[8:9]
	v_add_f64 v[44:45], v[10:11], v[12:13]
	v_add_f64 v[46:47], v[6:7], v[14:15]
	v_add_f64 v[60:61], v[10:11], -v[12:13]
	v_add_f64 v[58:59], v[6:7], -v[14:15]
	v_add_f64 v[48:49], v[18:19], v[20:21]
	v_add_f64 v[70:71], v[34:35], v[22:23]
	v_add_f64 v[50:51], v[16:17], v[24:25]
	v_add_f64 v[68:69], v[32:33], v[16:17]
	v_add_f64 v[52:53], v[26:27], v[28:29]
	v_add_f64 v[54:55], v[22:23], v[30:31]
	v_add_f64 v[74:75], v[22:23], -v[30:31]
	v_add_f64 v[76:77], v[16:17], -v[24:25]
	;; [unrolled: 1-line block ×16, first 2 shown]
	v_fma_f64 v[40:41], v[40:41], -0.5, v[36:37]
	v_fma_f64 v[36:37], v[42:43], -0.5, v[36:37]
	v_add_f64 v[42:43], v[2:3], -v[4:5]
	v_add_f64 v[10:11], v[62:63], v[10:11]
	v_fma_f64 v[44:45], v[44:45], -0.5, v[38:39]
	v_fma_f64 v[38:39], v[46:47], -0.5, v[38:39]
	v_add_f64 v[46:47], v[26:27], -v[28:29]
	v_fma_f64 v[48:49], v[48:49], -0.5, v[32:33]
	v_add_f64 v[26:27], v[70:71], v[26:27]
	v_fma_f64 v[32:33], v[50:51], -0.5, v[32:33]
	v_add_f64 v[50:51], v[18:19], -v[20:21]
	v_fma_f64 v[52:53], v[52:53], -0.5, v[34:35]
	v_fma_f64 v[34:35], v[54:55], -0.5, v[34:35]
	v_add_f64 v[54:55], v[0:1], -v[2:3]
	v_add_f64 v[0:1], v[2:3], -v[0:1]
	v_add_f64 v[2:3], v[56:57], v[2:3]
	v_add_f64 v[18:19], v[68:69], v[18:19]
	;; [unrolled: 1-line block ×5, first 2 shown]
	v_fma_f64 v[56:57], v[58:59], s[2:3], v[40:41]
	v_fma_f64 v[62:63], v[60:61], s[10:11], v[36:37]
	;; [unrolled: 1-line block ×16, first 2 shown]
	s_mov_b32 s2, 0x4755a5e
	s_mov_b32 s3, 0xbfe2cf23
	;; [unrolled: 1-line block ×4, first 2 shown]
	v_add_f64 v[0:1], v[0:1], v[80:81]
	v_add_f64 v[2:3], v[2:3], v[4:5]
	;; [unrolled: 1-line block ×9, first 2 shown]
	v_fma_f64 v[18:19], v[60:61], s[2:3], v[56:57]
	v_fma_f64 v[26:27], v[58:59], s[2:3], v[62:63]
	;; [unrolled: 1-line block ×16, first 2 shown]
	s_mov_b32 s2, 0x372fe950
	s_mov_b32 s3, 0x3fd3c6ef
	v_add_f64 v[32:33], v[2:3], v[8:9]
	v_add_f64 v[34:35], v[4:5], v[14:15]
	;; [unrolled: 1-line block ×4, first 2 shown]
	v_fma_f64 v[40:41], v[78:79], s[2:3], v[18:19]
	v_fma_f64 v[36:37], v[0:1], s[2:3], v[26:27]
	;; [unrolled: 1-line block ×3, first 2 shown]
	scratch_load_b32 v0, off, off offset:156 ; 4-byte Folded Reload
	v_fma_f64 v[48:49], v[78:79], s[2:3], v[20:21]
	v_fma_f64 v[42:43], v[80:81], s[2:3], v[56:57]
	;; [unrolled: 1-line block ×13, first 2 shown]
	s_waitcnt vmcnt(0)
	ds_store_b128 v0, v[32:35]
	ds_store_b128 v0, v[40:43] offset:288
	ds_store_b128 v0, v[36:39] offset:576
	;; [unrolled: 1-line block ×4, first 2 shown]
	s_and_saveexec_b32 s2, s0
	s_cbranch_execz .LBB0_25
; %bb.24:
	v_and_b32_e32 v0, 0xffff, v221
	s_delay_alu instid0(VALU_DEP_1) | instskip(NEXT) | instid1(VALU_DEP_1)
	v_mul_u32_u24_e32 v0, 0x5a, v0
	v_add_lshl_u32 v0, v0, v227, 4
	ds_store_b128 v0, v[52:55]
	ds_store_b128 v0, v[56:59] offset:288
	ds_store_b128 v0, v[60:63] offset:576
	;; [unrolled: 1-line block ×4, first 2 shown]
.LBB0_25:
	s_or_b32 exec_lo, exec_lo, s2
	s_waitcnt lgkmcnt(0)
	s_barrier
	buffer_gl0_inv
	s_and_saveexec_b32 s0, s1
	s_cbranch_execz .LBB0_27
; %bb.26:
	ds_load_b128 v[32:35], v255
	ds_load_b128 v[40:43], v255 offset:1440
	ds_load_b128 v[36:39], v255 offset:2880
	;; [unrolled: 1-line block ×10, first 2 shown]
.LBB0_27:
	s_or_b32 exec_lo, exec_lo, s0
	s_and_saveexec_b32 s16, s1
	s_cbranch_execz .LBB0_29
; %bb.28:
	scratch_load_b128 v[64:67], off, off offset:160 ; 16-byte Folded Reload
	s_waitcnt lgkmcnt(3)
	v_mul_f64 v[14:15], v[126:127], v[62:63]
	v_mul_f64 v[16:17], v[122:123], v[48:49]
	;; [unrolled: 1-line block ×4, first 2 shown]
	s_waitcnt lgkmcnt(2)
	v_mul_f64 v[22:23], v[118:119], v[70:71]
	v_mul_f64 v[24:25], v[102:103], v[38:39]
	s_waitcnt lgkmcnt(1)
	v_mul_f64 v[26:27], v[110:111], v[74:75]
	v_mul_f64 v[76:77], v[102:103], v[36:37]
	;; [unrolled: 3-line block ×3, first 2 shown]
	v_mul_f64 v[4:5], v[130:131], v[54:55]
	v_mul_f64 v[6:7], v[134:135], v[58:59]
	;; [unrolled: 1-line block ×7, first 2 shown]
	s_mov_b32 s22, 0xbb3a28a1
	s_mov_b32 s26, 0xfd768dbf
	;; [unrolled: 1-line block ×23, first 2 shown]
	v_fma_f64 v[4:5], v[128:129], v[52:53], v[4:5]
	v_fma_f64 v[6:7], v[132:133], v[56:57], v[6:7]
	v_fma_f64 v[8:9], v[128:129], v[54:55], -v[8:9]
	v_fma_f64 v[10:11], v[132:133], v[58:59], -v[10:11]
	v_fma_f64 v[12:13], v[120:121], v[48:49], v[12:13]
	s_delay_alu instid0(VALU_DEP_2) | instskip(NEXT) | instid1(VALU_DEP_1)
	v_add_f64 v[54:55], v[8:9], -v[10:11]
	v_mul_f64 v[106:107], v[54:55], s[20:21]
	v_mul_f64 v[90:91], v[54:55], s[18:19]
	;; [unrolled: 1-line block ×5, first 2 shown]
	s_waitcnt vmcnt(0)
	v_mul_f64 v[0:1], v[66:67], v[40:41]
	v_mul_f64 v[2:3], v[66:67], v[42:43]
	;; [unrolled: 1-line block ×3, first 2 shown]
	s_delay_alu instid0(VALU_DEP_3) | instskip(NEXT) | instid1(VALU_DEP_3)
	v_fma_f64 v[82:83], v[64:65], v[42:43], -v[0:1]
	v_fma_f64 v[64:65], v[64:65], v[40:41], v[2:3]
	v_fma_f64 v[0:1], v[124:125], v[60:61], v[14:15]
	v_fma_f64 v[14:15], v[120:121], v[50:51], -v[16:17]
	v_fma_f64 v[2:3], v[124:125], v[62:63], -v[18:19]
	v_fma_f64 v[16:17], v[112:113], v[44:45], v[20:21]
	v_fma_f64 v[44:45], v[116:117], v[68:69], v[22:23]
	;; [unrolled: 1-line block ×4, first 2 shown]
	v_fma_f64 v[22:23], v[100:101], v[38:39], -v[76:77]
	v_fma_f64 v[36:37], v[104:105], v[136:137], v[28:29]
	v_fma_f64 v[38:39], v[104:105], v[138:139], -v[80:81]
	v_fma_f64 v[20:21], v[112:113], v[46:47], -v[30:31]
	;; [unrolled: 1-line block ×4, first 2 shown]
	v_add_f64 v[28:29], v[4:5], -v[6:7]
	v_add_f64 v[66:67], v[8:9], v[10:11]
	v_add_f64 v[74:75], v[4:5], v[6:7]
	;; [unrolled: 1-line block ×4, first 2 shown]
	v_add_f64 v[30:31], v[12:13], -v[0:1]
	v_add_f64 v[76:77], v[12:13], v[0:1]
	v_add_f64 v[56:57], v[14:15], -v[2:3]
	v_add_f64 v[68:69], v[14:15], v[2:3]
	;; [unrolled: 2-line block ×3, first 2 shown]
	v_add_f64 v[50:51], v[18:19], -v[40:41]
	v_add_f64 v[52:53], v[64:65], -v[36:37]
	;; [unrolled: 1-line block ×3, first 2 shown]
	v_add_f64 v[72:73], v[82:83], v[38:39]
	v_add_f64 v[58:59], v[20:21], -v[46:47]
	v_add_f64 v[70:71], v[20:21], v[46:47]
	v_add_f64 v[60:61], v[22:23], -v[42:43]
	v_add_f64 v[64:65], v[64:65], v[36:37]
	v_mul_f64 v[100:101], v[28:29], s[20:21]
	v_mul_f64 v[80:81], v[28:29], s[18:19]
	;; [unrolled: 1-line block ×5, first 2 shown]
	v_fma_f64 v[162:163], v[74:75], s[14:15], -v[90:91]
	v_fma_f64 v[90:91], v[74:75], s[14:15], v[90:91]
	v_add_f64 v[24:25], v[24:25], v[22:23]
	v_add_f64 v[26:27], v[26:27], v[18:19]
	v_mul_f64 v[82:83], v[30:31], s[20:21]
	v_add_f64 v[22:23], v[22:23], v[42:43]
	v_mul_f64 v[92:93], v[56:57], s[20:21]
	;; [unrolled: 2-line block ×3, first 2 shown]
	v_mul_f64 v[104:105], v[48:49], s[28:29]
	v_mul_f64 v[86:87], v[50:51], s[24:25]
	;; [unrolled: 1-line block ×7, first 2 shown]
	s_mov_b32 s21, 0xbfed1bb4
	v_mul_f64 v[124:125], v[52:53], s[18:19]
	v_mul_f64 v[134:135], v[62:63], s[18:19]
	;; [unrolled: 1-line block ×23, first 2 shown]
	v_add_f64 v[20:21], v[24:25], v[20:21]
	v_add_f64 v[16:17], v[26:27], v[16:17]
	v_mul_f64 v[26:27], v[52:53], s[22:23]
	v_mul_f64 v[52:53], v[52:53], s[20:21]
	;; [unrolled: 1-line block ×5, first 2 shown]
	v_fma_f64 v[164:165], v[76:77], s[0:1], -v[92:93]
	v_fma_f64 v[158:159], v[22:23], s[12:13], v[86:87]
	v_fma_f64 v[86:87], v[22:23], s[12:13], -v[86:87]
	v_fma_f64 v[160:161], v[72:73], s[2:3], v[88:89]
	v_fma_f64 v[170:171], v[64:65], s[2:3], -v[98:99]
	v_fma_f64 v[174:175], v[64:65], s[10:11], -v[114:115]
	v_fma_f64 v[114:115], v[64:65], s[10:11], v[114:115]
	v_fma_f64 v[88:89], v[72:73], s[2:3], -v[88:89]
	v_fma_f64 v[98:99], v[64:65], s[2:3], v[98:99]
	v_fma_f64 v[176:177], v[72:73], s[14:15], v[124:125]
	v_fma_f64 v[178:179], v[64:65], s[14:15], -v[134:135]
	v_fma_f64 v[124:125], v[72:73], s[14:15], -v[124:125]
	v_fma_f64 v[180:181], v[72:73], s[12:13], v[152:153]
	v_fma_f64 v[152:153], v[72:73], s[12:13], -v[152:153]
	v_fma_f64 v[184:185], v[64:65], s[0:1], v[154:155]
	v_fma_f64 v[134:135], v[64:65], s[14:15], v[134:135]
	v_fma_f64 v[168:169], v[18:19], s[12:13], -v[96:97]
	v_fma_f64 v[96:97], v[18:19], s[12:13], v[96:97]
	v_fma_f64 v[186:187], v[18:19], s[2:3], -v[132:133]
	v_fma_f64 v[132:133], v[18:19], s[2:3], v[132:133]
	v_fma_f64 v[188:189], v[22:23], s[10:11], v[142:143]
	v_fma_f64 v[190:191], v[18:19], s[10:11], -v[150:151]
	v_fma_f64 v[142:143], v[22:23], s[10:11], -v[142:143]
	v_fma_f64 v[150:151], v[18:19], s[10:11], v[150:151]
	v_fma_f64 v[156:157], v[70:71], s[10:11], v[84:85]
	v_fma_f64 v[166:167], v[78:79], s[10:11], -v[94:95]
	;; [unrolled: 4-line block ×3, first 2 shown]
	v_fma_f64 v[48:49], v[70:71], s[14:15], -v[48:49]
	v_add_f64 v[14:15], v[20:21], v[14:15]
	v_add_f64 v[12:13], v[16:17], v[12:13]
	v_mul_f64 v[16:17], v[50:51], s[20:21]
	v_mul_f64 v[20:21], v[60:61], s[20:21]
	v_fma_f64 v[172:173], v[72:73], s[10:11], v[26:27]
	v_fma_f64 v[26:27], v[72:73], s[10:11], -v[26:27]
	v_fma_f64 v[182:183], v[72:73], s[0:1], -v[52:53]
	v_fma_f64 v[52:53], v[72:73], s[0:1], v[52:53]
	v_fma_f64 v[72:73], v[64:65], s[0:1], -v[154:155]
	v_fma_f64 v[154:155], v[22:23], s[2:3], v[122:123]
	;; [unrolled: 2-line block ×3, first 2 shown]
	v_fma_f64 v[60:61], v[68:69], s[0:1], v[82:83]
	v_add_f64 v[114:115], v[32:33], v[114:115]
	v_add_f64 v[88:89], v[34:35], v[88:89]
	;; [unrolled: 1-line block ×3, first 2 shown]
	v_fma_f64 v[82:83], v[68:69], s[0:1], -v[82:83]
	v_fma_f64 v[92:93], v[76:77], s[0:1], v[92:93]
	v_add_f64 v[124:125], v[34:35], v[124:125]
	v_fma_f64 v[50:51], v[66:67], s[14:15], v[80:81]
	v_add_f64 v[152:153], v[34:35], v[152:153]
	v_fma_f64 v[80:81], v[66:67], s[14:15], -v[80:81]
	v_add_f64 v[134:135], v[32:33], v[134:135]
	v_add_f64 v[8:9], v[14:15], v[8:9]
	v_add_f64 v[4:5], v[12:13], v[4:5]
	v_fma_f64 v[12:13], v[64:65], s[12:13], v[62:63]
	v_fma_f64 v[14:15], v[64:65], s[12:13], -v[62:63]
	v_fma_f64 v[62:63], v[22:23], s[14:15], v[24:25]
	v_fma_f64 v[64:65], v[18:19], s[14:15], -v[112:113]
	v_fma_f64 v[24:25], v[22:23], s[14:15], -v[24:25]
	v_fma_f64 v[112:113], v[18:19], s[14:15], v[112:113]
	v_fma_f64 v[192:193], v[22:23], s[0:1], v[16:17]
	v_fma_f64 v[194:195], v[18:19], s[0:1], -v[20:21]
	v_fma_f64 v[16:17], v[22:23], s[0:1], -v[16:17]
	v_fma_f64 v[18:19], v[18:19], s[0:1], v[20:21]
	v_add_f64 v[20:21], v[34:35], v[160:161]
	v_add_f64 v[22:23], v[32:33], v[170:171]
	v_add_f64 v[160:161], v[34:35], v[172:173]
	v_add_f64 v[170:171], v[32:33], v[174:175]
	v_add_f64 v[26:27], v[34:35], v[26:27]
	v_add_f64 v[172:173], v[34:35], v[176:177]
	v_add_f64 v[174:175], v[32:33], v[178:179]
	v_add_f64 v[176:177], v[34:35], v[180:181]
	v_add_f64 v[178:179], v[34:35], v[182:183]
	v_add_f64 v[180:181], v[32:33], v[184:185]
	v_add_f64 v[34:35], v[34:35], v[52:53]
	v_add_f64 v[52:53], v[32:33], v[72:73]
	v_fma_f64 v[72:73], v[78:79], s[12:13], v[110:111]
	v_fma_f64 v[182:183], v[70:71], s[2:3], v[140:141]
	v_fma_f64 v[184:185], v[78:79], s[2:3], -v[148:149]
	v_fma_f64 v[140:141], v[70:71], s[2:3], -v[140:141]
	v_fma_f64 v[148:149], v[78:79], s[2:3], v[148:149]
	v_add_f64 v[8:9], v[8:9], v[10:11]
	v_add_f64 v[4:5], v[4:5], v[6:7]
	;; [unrolled: 1-line block ×4, first 2 shown]
	v_fma_f64 v[12:13], v[70:71], s[12:13], v[104:105]
	v_fma_f64 v[14:15], v[78:79], s[12:13], -v[110:111]
	v_fma_f64 v[32:33], v[70:71], s[12:13], -v[104:105]
	v_fma_f64 v[104:105], v[70:71], s[0:1], v[120:121]
	v_fma_f64 v[110:111], v[78:79], s[0:1], -v[130:131]
	v_fma_f64 v[120:121], v[70:71], s[0:1], -v[120:121]
	v_fma_f64 v[130:131], v[78:79], s[0:1], v[130:131]
	v_add_f64 v[70:71], v[86:87], v[88:89]
	v_add_f64 v[20:21], v[158:159], v[20:21]
	v_add_f64 v[78:79], v[96:97], v[98:99]
	v_add_f64 v[62:63], v[62:63], v[160:161]
	v_add_f64 v[64:65], v[64:65], v[170:171]
	v_add_f64 v[24:25], v[24:25], v[26:27]
	v_add_f64 v[26:27], v[112:113], v[114:115]
	v_add_f64 v[22:23], v[168:169], v[22:23]
	v_add_f64 v[86:87], v[154:155], v[172:173]
	v_add_f64 v[96:97], v[122:123], v[124:125]
	v_add_f64 v[16:17], v[16:17], v[152:153]
	v_add_f64 v[114:115], v[142:143], v[178:179]
	v_add_f64 v[122:123], v[150:151], v[180:181]
	v_add_f64 v[88:89], v[186:187], v[174:175]
	v_add_f64 v[98:99], v[132:133], v[134:135]
	v_add_f64 v[34:35], v[188:189], v[34:35]
	v_add_f64 v[52:53], v[190:191], v[52:53]
	v_add_f64 v[112:113], v[192:193], v[176:177]
	v_fma_f64 v[132:133], v[68:69], s[14:15], v[138:139]
	v_fma_f64 v[134:135], v[76:77], s[14:15], -v[146:147]
	v_fma_f64 v[138:139], v[68:69], s[14:15], -v[138:139]
	v_fma_f64 v[142:143], v[76:77], s[14:15], v[146:147]
	v_fma_f64 v[146:147], v[68:69], s[10:11], v[30:31]
	v_fma_f64 v[30:31], v[68:69], s[10:11], -v[30:31]
	v_fma_f64 v[124:125], v[76:77], s[12:13], -v[128:129]
	v_fma_f64 v[128:129], v[76:77], s[12:13], v[128:129]
	v_fma_f64 v[150:151], v[76:77], s[10:11], -v[56:57]
	v_add_f64 v[2:3], v[8:9], v[2:3]
	v_add_f64 v[0:1], v[4:5], v[0:1]
	;; [unrolled: 1-line block ×4, first 2 shown]
	v_fma_f64 v[8:9], v[68:69], s[2:3], v[102:103]
	v_fma_f64 v[10:11], v[76:77], s[2:3], -v[108:109]
	v_fma_f64 v[18:19], v[68:69], s[2:3], -v[102:103]
	v_fma_f64 v[102:103], v[76:77], s[2:3], v[108:109]
	v_fma_f64 v[108:109], v[68:69], s[12:13], v[118:119]
	v_fma_f64 v[118:119], v[68:69], s[12:13], -v[118:119]
	v_fma_f64 v[56:57], v[76:77], s[10:11], v[56:57]
	v_add_f64 v[68:69], v[84:85], v[70:71]
	v_add_f64 v[20:21], v[156:157], v[20:21]
	;; [unrolled: 1-line block ×18, first 2 shown]
	v_fma_f64 v[84:85], v[74:75], s[0:1], v[106:107]
	v_fma_f64 v[86:87], v[66:67], s[10:11], v[116:117]
	v_fma_f64 v[94:95], v[66:67], s[10:11], -v[116:117]
	v_fma_f64 v[98:99], v[66:67], s[12:13], v[136:137]
	v_fma_f64 v[104:105], v[66:67], s[12:13], -v[136:137]
	;; [unrolled: 2-line block ×4, first 2 shown]
	v_add_f64 v[2:3], v[2:3], v[46:47]
	v_add_f64 v[0:1], v[0:1], v[44:45]
	v_add_f64 v[4:5], v[58:59], v[4:5]
	v_add_f64 v[6:7], v[198:199], v[6:7]
	v_fma_f64 v[44:45], v[66:67], s[0:1], v[100:101]
	v_fma_f64 v[46:47], v[74:75], s[0:1], -v[106:107]
	v_fma_f64 v[58:59], v[66:67], s[0:1], -v[100:101]
	v_fma_f64 v[106:107], v[74:75], s[12:13], v[144:145]
	v_fma_f64 v[100:101], v[74:75], s[12:13], -v[144:145]
	v_fma_f64 v[112:113], v[74:75], s[2:3], -v[54:55]
	v_fma_f64 v[54:55], v[74:75], s[2:3], v[54:55]
	v_add_f64 v[20:21], v[60:61], v[20:21]
	v_add_f64 v[60:61], v[82:83], v[68:69]
	;; [unrolled: 1-line block ×44, first 2 shown]
	ds_store_b128 v255, v[12:15] offset:5760
	ds_store_b128 v255, v[4:7] offset:7200
	;; [unrolled: 1-line block ×8, first 2 shown]
	ds_store_b128 v255, v[36:39]
	ds_store_b128 v255, v[28:31] offset:1440
	ds_store_b128 v255, v[24:27] offset:14400
.LBB0_29:
	s_or_b32 exec_lo, exec_lo, s16
	s_waitcnt lgkmcnt(0)
	s_barrier
	buffer_gl0_inv
	ds_load_b128 v[0:3], v255
	ds_load_b128 v[4:7], v255 offset:7920
	ds_load_b128 v[8:11], v255 offset:1760
	;; [unrolled: 1-line block ×7, first 2 shown]
	s_clause 0x2
	scratch_load_b128 v[71:74], off, off
	scratch_load_b128 v[81:84], off, off offset:64
	scratch_load_b128 v[85:88], off, off offset:80
	v_mad_u64_u32 v[64:65], null, s6, v205, 0
	v_mad_u64_u32 v[66:67], null, s4, v206, 0
	s_mul_i32 s0, s5, 0x1ef
	s_mul_hi_u32 s1, s4, 0x1ef
	s_mov_b32 s2, 0xb37565e2
	s_mul_i32 s6, s4, 0x1ef
	s_mul_i32 s11, s5, 0xfffffe7f
	s_mov_b32 s3, 0x3f508cab
	s_delay_alu instid0(VALU_DEP_1) | instskip(SKIP_3) | instid1(VALU_DEP_1)
	v_mad_u64_u32 v[68:69], null, s7, v205, v[65:66]
	v_mov_b32_e32 v65, v67
	s_add_i32 s7, s1, s0
	s_mul_i32 s10, s4, 0xfffffe7f
	v_mad_u64_u32 v[69:70], null, s5, v206, v[65:66]
	s_delay_alu instid0(VALU_DEP_3) | instskip(SKIP_1) | instid1(SALU_CYCLE_1)
	v_mov_b32_e32 v65, v68
	s_mul_hi_u32 s5, s4, 0xfffffe7f
	s_sub_i32 s1, s5, s4
	s_lshl_b64 s[4:5], s[6:7], 4
	s_add_i32 s11, s1, s11
	s_delay_alu instid0(VALU_DEP_2)
	v_mov_b32_e32 v67, v69
	s_lshl_b64 s[6:7], s[10:11], 4
	s_waitcnt vmcnt(2) lgkmcnt(7)
	v_mul_f64 v[32:33], v[73:74], v[2:3]
	v_mul_f64 v[34:35], v[73:74], v[0:1]
	scratch_load_b128 v[73:76], off, off offset:16 ; 16-byte Folded Reload
	s_waitcnt vmcnt(1) lgkmcnt(6)
	v_mul_f64 v[36:37], v[87:88], v[6:7]
	v_mul_f64 v[38:39], v[87:88], v[4:5]
	s_waitcnt lgkmcnt(4)
	v_mul_f64 v[44:45], v[83:84], v[14:15]
	v_mul_f64 v[46:47], v[83:84], v[12:13]
	scratch_load_b128 v[87:90], off, off offset:96 ; 16-byte Folded Reload
	v_fma_f64 v[0:1], v[71:72], v[0:1], v[32:33]
	v_fma_f64 v[32:33], v[71:72], v[2:3], -v[34:35]
	v_lshlrev_b64 v[2:3], 4, v[64:65]
	v_fma_f64 v[34:35], v[85:86], v[4:5], v[36:37]
	v_fma_f64 v[36:37], v[85:86], v[6:7], -v[38:39]
	v_lshlrev_b64 v[4:5], 4, v[66:67]
	s_delay_alu instid0(VALU_DEP_4) | instskip(NEXT) | instid1(VALU_DEP_1)
	v_add_co_u32 v2, s0, s8, v2
	v_add_co_ci_u32_e64 v3, s0, s9, v3, s0
	v_mul_f64 v[6:7], v[34:35], s[2:3]
	s_waitcnt vmcnt(1)
	v_mul_f64 v[40:41], v[75:76], v[10:11]
	v_mul_f64 v[42:43], v[75:76], v[8:9]
	scratch_load_b128 v[75:78], off, off offset:32 ; 16-byte Folded Reload
	s_waitcnt vmcnt(1) lgkmcnt(1)
	v_mul_f64 v[56:57], v[89:90], v[26:27]
	v_mul_f64 v[58:59], v[89:90], v[24:25]
	scratch_load_b128 v[89:92], off, off offset:112 ; 16-byte Folded Reload
	v_fma_f64 v[38:39], v[73:74], v[8:9], v[40:41]
	v_fma_f64 v[40:41], v[73:74], v[10:11], -v[42:43]
	v_fma_f64 v[42:43], v[81:82], v[12:13], v[44:45]
	v_fma_f64 v[44:45], v[81:82], v[14:15], -v[46:47]
	v_mul_f64 v[8:9], v[36:37], s[2:3]
	v_mul_f64 v[10:11], v[38:39], s[2:3]
	;; [unrolled: 1-line block ×4, first 2 shown]
	s_waitcnt vmcnt(1)
	v_mul_f64 v[48:49], v[77:78], v[18:19]
	v_mul_f64 v[50:51], v[77:78], v[16:17]
	scratch_load_b128 v[77:80], off, off offset:48 ; 16-byte Folded Reload
	s_waitcnt vmcnt(1) lgkmcnt(0)
	v_mul_f64 v[60:61], v[91:92], v[30:31]
	v_mul_f64 v[62:63], v[91:92], v[28:29]
	v_fma_f64 v[46:47], v[75:76], v[16:17], v[48:49]
	v_fma_f64 v[48:49], v[75:76], v[18:19], -v[50:51]
	v_mul_f64 v[16:17], v[44:45], s[2:3]
	s_delay_alu instid0(VALU_DEP_3) | instskip(SKIP_3) | instid1(VALU_DEP_2)
	v_mul_f64 v[18:19], v[46:47], s[2:3]
	s_waitcnt vmcnt(0)
	v_mul_f64 v[52:53], v[79:80], v[22:23]
	v_mul_f64 v[54:55], v[79:80], v[20:21]
	v_fma_f64 v[50:51], v[77:78], v[20:21], v[52:53]
	s_delay_alu instid0(VALU_DEP_2)
	v_fma_f64 v[52:53], v[77:78], v[22:23], -v[54:55]
	v_fma_f64 v[54:55], v[87:88], v[24:25], v[56:57]
	v_fma_f64 v[56:57], v[87:88], v[26:27], -v[58:59]
	v_fma_f64 v[58:59], v[89:90], v[28:29], v[60:61]
	v_fma_f64 v[60:61], v[89:90], v[30:31], -v[62:63]
	v_add_co_u32 v62, s0, v2, v4
	s_delay_alu instid0(VALU_DEP_1) | instskip(SKIP_2) | instid1(VALU_DEP_4)
	v_add_co_ci_u32_e64 v63, s0, v3, v5, s0
	v_mul_f64 v[2:3], v[0:1], s[2:3]
	v_mul_f64 v[4:5], v[32:33], s[2:3]
	v_add_co_u32 v64, s0, v62, s4
	s_delay_alu instid0(VALU_DEP_1) | instskip(SKIP_1) | instid1(VALU_DEP_3)
	v_add_co_ci_u32_e64 v65, s0, s5, v63, s0
	v_mul_f64 v[20:21], v[48:49], s[2:3]
	v_add_co_u32 v34, s0, v64, s6
	s_delay_alu instid0(VALU_DEP_1) | instskip(NEXT) | instid1(VALU_DEP_2)
	v_add_co_ci_u32_e64 v35, s0, s7, v65, s0
	v_add_co_u32 v36, s0, v34, s4
	s_delay_alu instid0(VALU_DEP_1) | instskip(NEXT) | instid1(VALU_DEP_2)
	v_add_co_ci_u32_e64 v37, s0, s5, v35, s0
	;; [unrolled: 3-line block ×4, first 2 shown]
	v_add_co_u32 v42, s0, v40, s6
	v_mul_f64 v[22:23], v[50:51], s[2:3]
	v_mul_f64 v[24:25], v[52:53], s[2:3]
	;; [unrolled: 1-line block ×6, first 2 shown]
	v_add_co_ci_u32_e64 v43, s0, s7, v41, s0
	v_add_co_u32 v0, s0, v42, s4
	s_delay_alu instid0(VALU_DEP_1)
	v_add_co_ci_u32_e64 v1, s0, s5, v43, s0
	s_clause 0x4
	global_store_b128 v[62:63], v[2:5], off
	global_store_b128 v[64:65], v[6:9], off
	;; [unrolled: 1-line block ×8, first 2 shown]
	s_and_b32 exec_lo, exec_lo, vcc_lo
	s_cbranch_execz .LBB0_31
; %bb.30:
	s_clause 0x1
	global_load_b128 v[2:5], v[209:210], off offset:2944
	global_load_b128 v[6:9], v[217:218], off offset:2672
	ds_load_b128 v[10:13], v255 offset:7040
	ds_load_b128 v[14:17], v255 offset:14960
	v_add_co_u32 v0, vcc_lo, v0, s6
	v_add_co_ci_u32_e32 v1, vcc_lo, s7, v1, vcc_lo
	s_waitcnt vmcnt(1) lgkmcnt(1)
	v_mul_f64 v[18:19], v[12:13], v[4:5]
	v_mul_f64 v[4:5], v[10:11], v[4:5]
	s_waitcnt vmcnt(0) lgkmcnt(0)
	v_mul_f64 v[20:21], v[16:17], v[8:9]
	v_mul_f64 v[8:9], v[14:15], v[8:9]
	s_delay_alu instid0(VALU_DEP_4) | instskip(NEXT) | instid1(VALU_DEP_4)
	v_fma_f64 v[10:11], v[10:11], v[2:3], v[18:19]
	v_fma_f64 v[4:5], v[2:3], v[12:13], -v[4:5]
	s_delay_alu instid0(VALU_DEP_4) | instskip(NEXT) | instid1(VALU_DEP_4)
	v_fma_f64 v[12:13], v[14:15], v[6:7], v[20:21]
	v_fma_f64 v[8:9], v[6:7], v[16:17], -v[8:9]
	s_delay_alu instid0(VALU_DEP_4) | instskip(NEXT) | instid1(VALU_DEP_4)
	v_mul_f64 v[2:3], v[10:11], s[2:3]
	v_mul_f64 v[4:5], v[4:5], s[2:3]
	s_delay_alu instid0(VALU_DEP_4) | instskip(NEXT) | instid1(VALU_DEP_4)
	v_mul_f64 v[6:7], v[12:13], s[2:3]
	v_mul_f64 v[8:9], v[8:9], s[2:3]
	v_add_co_u32 v10, vcc_lo, v0, s4
	v_add_co_ci_u32_e32 v11, vcc_lo, s5, v1, vcc_lo
	global_store_b128 v[0:1], v[2:5], off
	global_store_b128 v[10:11], v[6:9], off
.LBB0_31:
	s_nop 0
	s_sendmsg sendmsg(MSG_DEALLOC_VGPRS)
	s_endpgm
	.section	.rodata,"a",@progbits
	.p2align	6, 0x0
	.amdhsa_kernel bluestein_single_fwd_len990_dim1_dp_op_CI_CI
		.amdhsa_group_segment_fixed_size 15840
		.amdhsa_private_segment_fixed_size 328
		.amdhsa_kernarg_size 104
		.amdhsa_user_sgpr_count 15
		.amdhsa_user_sgpr_dispatch_ptr 0
		.amdhsa_user_sgpr_queue_ptr 0
		.amdhsa_user_sgpr_kernarg_segment_ptr 1
		.amdhsa_user_sgpr_dispatch_id 0
		.amdhsa_user_sgpr_private_segment_size 0
		.amdhsa_wavefront_size32 1
		.amdhsa_uses_dynamic_stack 0
		.amdhsa_enable_private_segment 1
		.amdhsa_system_sgpr_workgroup_id_x 1
		.amdhsa_system_sgpr_workgroup_id_y 0
		.amdhsa_system_sgpr_workgroup_id_z 0
		.amdhsa_system_sgpr_workgroup_info 0
		.amdhsa_system_vgpr_workitem_id 0
		.amdhsa_next_free_vgpr 256
		.amdhsa_next_free_sgpr 40
		.amdhsa_reserve_vcc 1
		.amdhsa_float_round_mode_32 0
		.amdhsa_float_round_mode_16_64 0
		.amdhsa_float_denorm_mode_32 3
		.amdhsa_float_denorm_mode_16_64 3
		.amdhsa_dx10_clamp 1
		.amdhsa_ieee_mode 1
		.amdhsa_fp16_overflow 0
		.amdhsa_workgroup_processor_mode 1
		.amdhsa_memory_ordered 1
		.amdhsa_forward_progress 0
		.amdhsa_shared_vgpr_count 0
		.amdhsa_exception_fp_ieee_invalid_op 0
		.amdhsa_exception_fp_denorm_src 0
		.amdhsa_exception_fp_ieee_div_zero 0
		.amdhsa_exception_fp_ieee_overflow 0
		.amdhsa_exception_fp_ieee_underflow 0
		.amdhsa_exception_fp_ieee_inexact 0
		.amdhsa_exception_int_div_zero 0
	.end_amdhsa_kernel
	.text
.Lfunc_end0:
	.size	bluestein_single_fwd_len990_dim1_dp_op_CI_CI, .Lfunc_end0-bluestein_single_fwd_len990_dim1_dp_op_CI_CI
                                        ; -- End function
	.section	.AMDGPU.csdata,"",@progbits
; Kernel info:
; codeLenInByte = 18144
; NumSgprs: 42
; NumVgprs: 256
; ScratchSize: 328
; MemoryBound: 0
; FloatMode: 240
; IeeeMode: 1
; LDSByteSize: 15840 bytes/workgroup (compile time only)
; SGPRBlocks: 5
; VGPRBlocks: 31
; NumSGPRsForWavesPerEU: 42
; NumVGPRsForWavesPerEU: 256
; Occupancy: 5
; WaveLimiterHint : 1
; COMPUTE_PGM_RSRC2:SCRATCH_EN: 1
; COMPUTE_PGM_RSRC2:USER_SGPR: 15
; COMPUTE_PGM_RSRC2:TRAP_HANDLER: 0
; COMPUTE_PGM_RSRC2:TGID_X_EN: 1
; COMPUTE_PGM_RSRC2:TGID_Y_EN: 0
; COMPUTE_PGM_RSRC2:TGID_Z_EN: 0
; COMPUTE_PGM_RSRC2:TIDIG_COMP_CNT: 0
	.text
	.p2alignl 7, 3214868480
	.fill 96, 4, 3214868480
	.type	__hip_cuid_d77cb721a91c9ed0,@object ; @__hip_cuid_d77cb721a91c9ed0
	.section	.bss,"aw",@nobits
	.globl	__hip_cuid_d77cb721a91c9ed0
__hip_cuid_d77cb721a91c9ed0:
	.byte	0                               ; 0x0
	.size	__hip_cuid_d77cb721a91c9ed0, 1

	.ident	"AMD clang version 19.0.0git (https://github.com/RadeonOpenCompute/llvm-project roc-6.4.0 25133 c7fe45cf4b819c5991fe208aaa96edf142730f1d)"
	.section	".note.GNU-stack","",@progbits
	.addrsig
	.addrsig_sym __hip_cuid_d77cb721a91c9ed0
	.amdgpu_metadata
---
amdhsa.kernels:
  - .args:
      - .actual_access:  read_only
        .address_space:  global
        .offset:         0
        .size:           8
        .value_kind:     global_buffer
      - .actual_access:  read_only
        .address_space:  global
        .offset:         8
        .size:           8
        .value_kind:     global_buffer
      - .actual_access:  read_only
        .address_space:  global
        .offset:         16
        .size:           8
        .value_kind:     global_buffer
      - .actual_access:  read_only
        .address_space:  global
        .offset:         24
        .size:           8
        .value_kind:     global_buffer
      - .actual_access:  read_only
        .address_space:  global
        .offset:         32
        .size:           8
        .value_kind:     global_buffer
      - .offset:         40
        .size:           8
        .value_kind:     by_value
      - .address_space:  global
        .offset:         48
        .size:           8
        .value_kind:     global_buffer
      - .address_space:  global
        .offset:         56
        .size:           8
        .value_kind:     global_buffer
      - .address_space:  global
        .offset:         64
        .size:           8
        .value_kind:     global_buffer
      - .address_space:  global
        .offset:         72
        .size:           8
        .value_kind:     global_buffer
      - .offset:         80
        .size:           4
        .value_kind:     by_value
      - .address_space:  global
        .offset:         88
        .size:           8
        .value_kind:     global_buffer
      - .address_space:  global
        .offset:         96
        .size:           8
        .value_kind:     global_buffer
    .group_segment_fixed_size: 15840
    .kernarg_segment_align: 8
    .kernarg_segment_size: 104
    .language:       OpenCL C
    .language_version:
      - 2
      - 0
    .max_flat_workgroup_size: 110
    .name:           bluestein_single_fwd_len990_dim1_dp_op_CI_CI
    .private_segment_fixed_size: 328
    .sgpr_count:     42
    .sgpr_spill_count: 0
    .symbol:         bluestein_single_fwd_len990_dim1_dp_op_CI_CI.kd
    .uniform_work_group_size: 1
    .uses_dynamic_stack: false
    .vgpr_count:     256
    .vgpr_spill_count: 81
    .wavefront_size: 32
    .workgroup_processor_mode: 1
amdhsa.target:   amdgcn-amd-amdhsa--gfx1100
amdhsa.version:
  - 1
  - 2
...

	.end_amdgpu_metadata
